;; amdgpu-corpus repo=ROCm/rocFFT kind=compiled arch=gfx1201 opt=O3
	.text
	.amdgcn_target "amdgcn-amd-amdhsa--gfx1201"
	.amdhsa_code_object_version 6
	.protected	fft_rtc_fwd_len405_factors_5_3_3_3_3_wgs_108_tpt_27_halfLds_dp_op_CI_CI_unitstride_sbrr_dirReg ; -- Begin function fft_rtc_fwd_len405_factors_5_3_3_3_3_wgs_108_tpt_27_halfLds_dp_op_CI_CI_unitstride_sbrr_dirReg
	.globl	fft_rtc_fwd_len405_factors_5_3_3_3_3_wgs_108_tpt_27_halfLds_dp_op_CI_CI_unitstride_sbrr_dirReg
	.p2align	8
	.type	fft_rtc_fwd_len405_factors_5_3_3_3_3_wgs_108_tpt_27_halfLds_dp_op_CI_CI_unitstride_sbrr_dirReg,@function
fft_rtc_fwd_len405_factors_5_3_3_3_3_wgs_108_tpt_27_halfLds_dp_op_CI_CI_unitstride_sbrr_dirReg: ; @fft_rtc_fwd_len405_factors_5_3_3_3_3_wgs_108_tpt_27_halfLds_dp_op_CI_CI_unitstride_sbrr_dirReg
; %bb.0:
	s_clause 0x2
	s_load_b128 s[8:11], s[0:1], 0x0
	s_load_b128 s[4:7], s[0:1], 0x58
	;; [unrolled: 1-line block ×3, first 2 shown]
	v_mul_u32_u24_e32 v1, 0x97c, v0
	v_mov_b32_e32 v4, 0
	v_mov_b32_e32 v5, 0
	s_delay_alu instid0(VALU_DEP_3) | instskip(SKIP_1) | instid1(VALU_DEP_2)
	v_lshrrev_b32_e32 v65, 16, v1
	v_mov_b32_e32 v1, 0
	v_lshl_add_u32 v6, ttmp9, 2, v65
	s_delay_alu instid0(VALU_DEP_2) | instskip(SKIP_2) | instid1(VALU_DEP_1)
	v_mov_b32_e32 v7, v1
	s_wait_kmcnt 0x0
	v_cmp_lt_u64_e64 s2, s[10:11], 2
	s_and_b32 vcc_lo, exec_lo, s2
	s_cbranch_vccnz .LBB0_8
; %bb.1:
	s_load_b64 s[2:3], s[0:1], 0x10
	v_mov_b32_e32 v4, 0
	v_mov_b32_e32 v5, 0
	s_add_nc_u64 s[16:17], s[14:15], 8
	s_add_nc_u64 s[18:19], s[12:13], 8
	s_mov_b64 s[20:21], 1
	s_delay_alu instid0(VALU_DEP_1)
	v_dual_mov_b32 v61, v5 :: v_dual_mov_b32 v60, v4
	s_wait_kmcnt 0x0
	s_add_nc_u64 s[22:23], s[2:3], 8
	s_mov_b32 s3, 0
.LBB0_2:                                ; =>This Inner Loop Header: Depth=1
	s_load_b64 s[24:25], s[22:23], 0x0
                                        ; implicit-def: $vgpr62_vgpr63
	s_mov_b32 s2, exec_lo
	s_wait_kmcnt 0x0
	v_or_b32_e32 v2, s25, v7
	s_delay_alu instid0(VALU_DEP_1)
	v_cmpx_ne_u64_e32 0, v[1:2]
	s_wait_alu 0xfffe
	s_xor_b32 s26, exec_lo, s2
	s_cbranch_execz .LBB0_4
; %bb.3:                                ;   in Loop: Header=BB0_2 Depth=1
	s_cvt_f32_u32 s2, s24
	s_cvt_f32_u32 s27, s25
	s_sub_nc_u64 s[30:31], 0, s[24:25]
	s_wait_alu 0xfffe
	s_delay_alu instid0(SALU_CYCLE_1) | instskip(SKIP_1) | instid1(SALU_CYCLE_2)
	s_fmamk_f32 s2, s27, 0x4f800000, s2
	s_wait_alu 0xfffe
	v_s_rcp_f32 s2, s2
	s_delay_alu instid0(TRANS32_DEP_1) | instskip(SKIP_1) | instid1(SALU_CYCLE_2)
	s_mul_f32 s2, s2, 0x5f7ffffc
	s_wait_alu 0xfffe
	s_mul_f32 s27, s2, 0x2f800000
	s_wait_alu 0xfffe
	s_delay_alu instid0(SALU_CYCLE_2) | instskip(SKIP_1) | instid1(SALU_CYCLE_2)
	s_trunc_f32 s27, s27
	s_wait_alu 0xfffe
	s_fmamk_f32 s2, s27, 0xcf800000, s2
	s_cvt_u32_f32 s29, s27
	s_wait_alu 0xfffe
	s_delay_alu instid0(SALU_CYCLE_1) | instskip(SKIP_1) | instid1(SALU_CYCLE_2)
	s_cvt_u32_f32 s28, s2
	s_wait_alu 0xfffe
	s_mul_u64 s[34:35], s[30:31], s[28:29]
	s_wait_alu 0xfffe
	s_mul_hi_u32 s37, s28, s35
	s_mul_i32 s36, s28, s35
	s_mul_hi_u32 s2, s28, s34
	s_mul_i32 s33, s29, s34
	s_wait_alu 0xfffe
	s_add_nc_u64 s[36:37], s[2:3], s[36:37]
	s_mul_hi_u32 s27, s29, s34
	s_mul_hi_u32 s38, s29, s35
	s_add_co_u32 s2, s36, s33
	s_wait_alu 0xfffe
	s_add_co_ci_u32 s2, s37, s27
	s_mul_i32 s34, s29, s35
	s_add_co_ci_u32 s35, s38, 0
	s_wait_alu 0xfffe
	s_add_nc_u64 s[34:35], s[2:3], s[34:35]
	s_wait_alu 0xfffe
	v_add_co_u32 v2, s2, s28, s34
	s_delay_alu instid0(VALU_DEP_1) | instskip(SKIP_1) | instid1(VALU_DEP_1)
	s_cmp_lg_u32 s2, 0
	s_add_co_ci_u32 s29, s29, s35
	v_readfirstlane_b32 s28, v2
	s_wait_alu 0xfffe
	s_delay_alu instid0(VALU_DEP_1)
	s_mul_u64 s[30:31], s[30:31], s[28:29]
	s_wait_alu 0xfffe
	s_mul_hi_u32 s35, s28, s31
	s_mul_i32 s34, s28, s31
	s_mul_hi_u32 s2, s28, s30
	s_mul_i32 s33, s29, s30
	s_wait_alu 0xfffe
	s_add_nc_u64 s[34:35], s[2:3], s[34:35]
	s_mul_hi_u32 s27, s29, s30
	s_mul_hi_u32 s28, s29, s31
	s_wait_alu 0xfffe
	s_add_co_u32 s2, s34, s33
	s_add_co_ci_u32 s2, s35, s27
	s_mul_i32 s30, s29, s31
	s_add_co_ci_u32 s31, s28, 0
	s_wait_alu 0xfffe
	s_add_nc_u64 s[30:31], s[2:3], s[30:31]
	s_wait_alu 0xfffe
	v_add_co_u32 v8, s2, v2, s30
	s_delay_alu instid0(VALU_DEP_1) | instskip(SKIP_1) | instid1(VALU_DEP_1)
	s_cmp_lg_u32 s2, 0
	s_add_co_ci_u32 s2, s29, s31
	v_mul_hi_u32 v12, v6, v8
	s_wait_alu 0xfffe
	v_mad_co_u64_u32 v[2:3], null, v6, s2, 0
	v_mad_co_u64_u32 v[8:9], null, v7, v8, 0
	;; [unrolled: 1-line block ×3, first 2 shown]
	s_delay_alu instid0(VALU_DEP_3) | instskip(SKIP_1) | instid1(VALU_DEP_4)
	v_add_co_u32 v2, vcc_lo, v12, v2
	s_wait_alu 0xfffd
	v_add_co_ci_u32_e32 v3, vcc_lo, 0, v3, vcc_lo
	s_delay_alu instid0(VALU_DEP_2) | instskip(SKIP_1) | instid1(VALU_DEP_2)
	v_add_co_u32 v2, vcc_lo, v2, v8
	s_wait_alu 0xfffd
	v_add_co_ci_u32_e32 v2, vcc_lo, v3, v9, vcc_lo
	s_wait_alu 0xfffd
	v_add_co_ci_u32_e32 v3, vcc_lo, 0, v11, vcc_lo
	s_delay_alu instid0(VALU_DEP_2) | instskip(SKIP_1) | instid1(VALU_DEP_2)
	v_add_co_u32 v8, vcc_lo, v2, v10
	s_wait_alu 0xfffd
	v_add_co_ci_u32_e32 v9, vcc_lo, 0, v3, vcc_lo
	s_delay_alu instid0(VALU_DEP_2) | instskip(SKIP_1) | instid1(VALU_DEP_3)
	v_mul_lo_u32 v10, s25, v8
	v_mad_co_u64_u32 v[2:3], null, s24, v8, 0
	v_mul_lo_u32 v11, s24, v9
	s_delay_alu instid0(VALU_DEP_2) | instskip(NEXT) | instid1(VALU_DEP_2)
	v_sub_co_u32 v2, vcc_lo, v6, v2
	v_add3_u32 v3, v3, v11, v10
	s_delay_alu instid0(VALU_DEP_1) | instskip(SKIP_1) | instid1(VALU_DEP_1)
	v_sub_nc_u32_e32 v10, v7, v3
	s_wait_alu 0xfffd
	v_subrev_co_ci_u32_e64 v10, s2, s25, v10, vcc_lo
	v_add_co_u32 v11, s2, v8, 2
	s_wait_alu 0xf1ff
	v_add_co_ci_u32_e64 v12, s2, 0, v9, s2
	v_sub_co_u32 v13, s2, v2, s24
	v_sub_co_ci_u32_e32 v3, vcc_lo, v7, v3, vcc_lo
	s_wait_alu 0xf1ff
	v_subrev_co_ci_u32_e64 v10, s2, 0, v10, s2
	s_delay_alu instid0(VALU_DEP_3) | instskip(NEXT) | instid1(VALU_DEP_3)
	v_cmp_le_u32_e32 vcc_lo, s24, v13
	v_cmp_eq_u32_e64 s2, s25, v3
	s_wait_alu 0xfffd
	v_cndmask_b32_e64 v13, 0, -1, vcc_lo
	v_cmp_le_u32_e32 vcc_lo, s25, v10
	s_wait_alu 0xfffd
	v_cndmask_b32_e64 v14, 0, -1, vcc_lo
	v_cmp_le_u32_e32 vcc_lo, s24, v2
	;; [unrolled: 3-line block ×3, first 2 shown]
	s_wait_alu 0xfffd
	v_cndmask_b32_e64 v15, 0, -1, vcc_lo
	v_cmp_eq_u32_e32 vcc_lo, s25, v10
	s_wait_alu 0xf1ff
	s_delay_alu instid0(VALU_DEP_2)
	v_cndmask_b32_e64 v2, v15, v2, s2
	s_wait_alu 0xfffd
	v_cndmask_b32_e32 v10, v14, v13, vcc_lo
	v_add_co_u32 v13, vcc_lo, v8, 1
	s_wait_alu 0xfffd
	v_add_co_ci_u32_e32 v14, vcc_lo, 0, v9, vcc_lo
	s_delay_alu instid0(VALU_DEP_3) | instskip(SKIP_1) | instid1(VALU_DEP_2)
	v_cmp_ne_u32_e32 vcc_lo, 0, v10
	s_wait_alu 0xfffd
	v_dual_cndmask_b32 v3, v14, v12 :: v_dual_cndmask_b32 v10, v13, v11
	v_cmp_ne_u32_e32 vcc_lo, 0, v2
	s_wait_alu 0xfffd
	s_delay_alu instid0(VALU_DEP_2)
	v_dual_cndmask_b32 v63, v9, v3 :: v_dual_cndmask_b32 v62, v8, v10
.LBB0_4:                                ;   in Loop: Header=BB0_2 Depth=1
	s_wait_alu 0xfffe
	s_and_not1_saveexec_b32 s2, s26
	s_cbranch_execz .LBB0_6
; %bb.5:                                ;   in Loop: Header=BB0_2 Depth=1
	v_cvt_f32_u32_e32 v2, s24
	s_sub_co_i32 s26, 0, s24
	v_mov_b32_e32 v63, v1
	s_delay_alu instid0(VALU_DEP_2) | instskip(NEXT) | instid1(TRANS32_DEP_1)
	v_rcp_iflag_f32_e32 v2, v2
	v_mul_f32_e32 v2, 0x4f7ffffe, v2
	s_delay_alu instid0(VALU_DEP_1) | instskip(SKIP_1) | instid1(VALU_DEP_1)
	v_cvt_u32_f32_e32 v2, v2
	s_wait_alu 0xfffe
	v_mul_lo_u32 v3, s26, v2
	s_delay_alu instid0(VALU_DEP_1) | instskip(NEXT) | instid1(VALU_DEP_1)
	v_mul_hi_u32 v3, v2, v3
	v_add_nc_u32_e32 v2, v2, v3
	s_delay_alu instid0(VALU_DEP_1) | instskip(NEXT) | instid1(VALU_DEP_1)
	v_mul_hi_u32 v2, v6, v2
	v_mul_lo_u32 v3, v2, s24
	v_add_nc_u32_e32 v8, 1, v2
	s_delay_alu instid0(VALU_DEP_2) | instskip(NEXT) | instid1(VALU_DEP_1)
	v_sub_nc_u32_e32 v3, v6, v3
	v_subrev_nc_u32_e32 v9, s24, v3
	v_cmp_le_u32_e32 vcc_lo, s24, v3
	s_wait_alu 0xfffd
	s_delay_alu instid0(VALU_DEP_2) | instskip(NEXT) | instid1(VALU_DEP_1)
	v_dual_cndmask_b32 v3, v3, v9 :: v_dual_cndmask_b32 v2, v2, v8
	v_cmp_le_u32_e32 vcc_lo, s24, v3
	s_delay_alu instid0(VALU_DEP_2) | instskip(SKIP_1) | instid1(VALU_DEP_1)
	v_add_nc_u32_e32 v8, 1, v2
	s_wait_alu 0xfffd
	v_cndmask_b32_e32 v62, v2, v8, vcc_lo
.LBB0_6:                                ;   in Loop: Header=BB0_2 Depth=1
	s_wait_alu 0xfffe
	s_or_b32 exec_lo, exec_lo, s2
	v_mul_lo_u32 v8, v63, s24
	s_delay_alu instid0(VALU_DEP_2)
	v_mul_lo_u32 v9, v62, s25
	s_load_b64 s[26:27], s[18:19], 0x0
	v_mad_co_u64_u32 v[2:3], null, v62, s24, 0
	s_load_b64 s[24:25], s[16:17], 0x0
	s_add_nc_u64 s[20:21], s[20:21], 1
	s_add_nc_u64 s[16:17], s[16:17], 8
	s_wait_alu 0xfffe
	v_cmp_ge_u64_e64 s2, s[20:21], s[10:11]
	s_add_nc_u64 s[18:19], s[18:19], 8
	s_add_nc_u64 s[22:23], s[22:23], 8
	v_add3_u32 v3, v3, v9, v8
	v_sub_co_u32 v2, vcc_lo, v6, v2
	s_wait_alu 0xfffd
	s_delay_alu instid0(VALU_DEP_2) | instskip(SKIP_2) | instid1(VALU_DEP_1)
	v_sub_co_ci_u32_e32 v3, vcc_lo, v7, v3, vcc_lo
	s_and_b32 vcc_lo, exec_lo, s2
	s_wait_kmcnt 0x0
	v_mul_lo_u32 v6, s26, v3
	v_mul_lo_u32 v7, s27, v2
	v_mad_co_u64_u32 v[4:5], null, s26, v2, v[4:5]
	v_mul_lo_u32 v3, s24, v3
	v_mul_lo_u32 v8, s25, v2
	v_mad_co_u64_u32 v[60:61], null, s24, v2, v[60:61]
	s_delay_alu instid0(VALU_DEP_4) | instskip(NEXT) | instid1(VALU_DEP_2)
	v_add3_u32 v5, v7, v5, v6
	v_add3_u32 v61, v8, v61, v3
	s_wait_alu 0xfffe
	s_cbranch_vccnz .LBB0_9
; %bb.7:                                ;   in Loop: Header=BB0_2 Depth=1
	v_dual_mov_b32 v6, v62 :: v_dual_mov_b32 v7, v63
	s_branch .LBB0_2
.LBB0_8:
	v_dual_mov_b32 v61, v5 :: v_dual_mov_b32 v60, v4
	v_dual_mov_b32 v63, v7 :: v_dual_mov_b32 v62, v6
.LBB0_9:
	s_load_b64 s[0:1], s[0:1], 0x28
	v_mul_hi_u32 v1, 0x97b425f, v0
	s_lshl_b64 s[10:11], s[10:11], 3
                                        ; implicit-def: $vgpr64
	s_wait_kmcnt 0x0
	v_cmp_gt_u64_e32 vcc_lo, s[0:1], v[62:63]
	v_cmp_le_u64_e64 s0, s[0:1], v[62:63]
	s_delay_alu instid0(VALU_DEP_1)
	s_and_saveexec_b32 s1, s0
	s_wait_alu 0xfffe
	s_xor_b32 s0, exec_lo, s1
; %bb.10:
	v_mul_u32_u24_e32 v1, 27, v1
                                        ; implicit-def: $vgpr4_vgpr5
	s_delay_alu instid0(VALU_DEP_1)
	v_sub_nc_u32_e32 v64, v0, v1
                                        ; implicit-def: $vgpr1
                                        ; implicit-def: $vgpr0
; %bb.11:
	s_wait_alu 0xfffe
	s_or_saveexec_b32 s1, s0
	s_add_nc_u64 s[2:3], s[14:15], s[10:11]
                                        ; implicit-def: $vgpr10_vgpr11
                                        ; implicit-def: $vgpr14_vgpr15
                                        ; implicit-def: $vgpr22_vgpr23
                                        ; implicit-def: $vgpr26_vgpr27
                                        ; implicit-def: $vgpr42_vgpr43
                                        ; implicit-def: $vgpr6_vgpr7
                                        ; implicit-def: $vgpr46_vgpr47
                                        ; implicit-def: $vgpr34_vgpr35
                                        ; implicit-def: $vgpr50_vgpr51
                                        ; implicit-def: $vgpr30_vgpr31
                                        ; implicit-def: $vgpr2_vgpr3
                                        ; implicit-def: $vgpr54_vgpr55
                                        ; implicit-def: $vgpr38_vgpr39
                                        ; implicit-def: $vgpr58_vgpr59
                                        ; implicit-def: $vgpr18_vgpr19
	s_wait_alu 0xfffe
	s_xor_b32 exec_lo, exec_lo, s1
	s_cbranch_execz .LBB0_13
; %bb.12:
	s_add_nc_u64 s[10:11], s[12:13], s[10:11]
	s_load_b64 s[10:11], s[10:11], 0x0
	s_wait_kmcnt 0x0
	v_mul_lo_u32 v6, s11, v62
	v_mul_lo_u32 v7, s10, v63
	v_mad_co_u64_u32 v[2:3], null, s10, v62, 0
	s_delay_alu instid0(VALU_DEP_1) | instskip(SKIP_1) | instid1(VALU_DEP_2)
	v_add3_u32 v3, v3, v7, v6
	v_mul_u32_u24_e32 v6, 27, v1
	v_lshlrev_b64_e32 v[1:2], 4, v[2:3]
	v_lshlrev_b64_e32 v[3:4], 4, v[4:5]
	s_delay_alu instid0(VALU_DEP_3) | instskip(NEXT) | instid1(VALU_DEP_3)
	v_sub_nc_u32_e32 v64, v0, v6
	v_add_co_u32 v0, s0, s4, v1
	s_wait_alu 0xf1ff
	s_delay_alu instid0(VALU_DEP_4) | instskip(NEXT) | instid1(VALU_DEP_3)
	v_add_co_ci_u32_e64 v1, s0, s5, v2, s0
	v_lshlrev_b32_e32 v2, 4, v64
	s_delay_alu instid0(VALU_DEP_3) | instskip(SKIP_1) | instid1(VALU_DEP_3)
	v_add_co_u32 v0, s0, v0, v3
	s_wait_alu 0xf1ff
	v_add_co_ci_u32_e64 v1, s0, v1, v4, s0
	s_delay_alu instid0(VALU_DEP_2) | instskip(SKIP_1) | instid1(VALU_DEP_2)
	v_add_co_u32 v8, s0, v0, v2
	s_wait_alu 0xf1ff
	v_add_co_ci_u32_e64 v9, s0, 0, v1, s0
	s_clause 0xe
	global_load_b128 v[16:19], v[8:9], off
	global_load_b128 v[28:31], v[8:9], off offset:432
	global_load_b128 v[36:39], v[8:9], off offset:2592
	;; [unrolled: 1-line block ×14, first 2 shown]
.LBB0_13:
	s_or_b32 exec_lo, exec_lo, s1
	s_wait_loadcnt 0x8
	v_add_f64_e32 v[66:67], v[56:57], v[16:17]
	v_add_f64_e32 v[68:69], v[58:59], v[18:19]
	s_wait_loadcnt 0x6
	v_add_f64_e32 v[70:71], v[48:49], v[28:29]
	v_add_f64_e32 v[72:73], v[50:51], v[30:31]
	;; [unrolled: 3-line block ×3, first 2 shown]
	v_add_f64_e32 v[78:79], v[54:55], v[38:39]
	v_add_f64_e32 v[80:81], v[2:3], v[58:59]
	s_wait_loadcnt 0x2
	v_add_f64_e32 v[82:83], v[44:45], v[32:33]
	v_add_f64_e32 v[84:85], v[4:5], v[48:49]
	v_add_f64_e32 v[86:87], v[46:47], v[34:35]
	v_add_f64_e32 v[88:89], v[6:7], v[50:51]
	v_add_f64_e64 v[90:91], v[58:59], -v[2:3]
	s_wait_loadcnt 0x1
	v_add_f64_e32 v[92:93], v[12:13], v[20:21]
	s_wait_loadcnt 0x0
	v_add_f64_e32 v[94:95], v[8:9], v[24:25]
	v_add_f64_e32 v[96:97], v[14:15], v[22:23]
	;; [unrolled: 1-line block ×3, first 2 shown]
	v_add_f64_e64 v[100:101], v[38:39], -v[54:55]
	v_add_f64_e64 v[102:103], v[56:57], -v[36:37]
	;; [unrolled: 1-line block ×10, first 2 shown]
	s_mov_b32 s0, 0x134454ff
	s_mov_b32 s1, 0x3fee6f0e
	s_mov_b32 s5, 0xbfee6f0e
	s_wait_alu 0xfffe
	s_mov_b32 s4, s0
	v_add_f64_e64 v[56:57], v[56:57], -v[0:1]
	v_add_f64_e64 v[48:49], v[48:49], -v[4:5]
	;; [unrolled: 1-line block ×3, first 2 shown]
	s_mov_b32 s10, 0x4755a5e
	s_mov_b32 s11, 0x3fe2cf23
	;; [unrolled: 1-line block ×3, first 2 shown]
	s_wait_alu 0xfffe
	s_mov_b32 s12, s10
	v_add_f64_e32 v[66:67], v[36:37], v[66:67]
	v_add_f64_e32 v[68:69], v[38:39], v[68:69]
	;; [unrolled: 1-line block ×3, first 2 shown]
	v_add_f64_e64 v[38:39], v[38:39], -v[58:59]
	v_add_f64_e64 v[58:59], v[52:53], -v[0:1]
	v_add_f64_e32 v[72:73], v[34:35], v[72:73]
	v_add_f64_e64 v[36:37], v[36:37], -v[52:53]
	v_fma_f64 v[74:75], v[74:75], -0.5, v[16:17]
	v_fma_f64 v[16:17], v[76:77], -0.5, v[16:17]
	;; [unrolled: 1-line block ×4, first 2 shown]
	v_add_f64_e32 v[78:79], v[24:25], v[40:41]
	v_add_f64_e32 v[80:81], v[26:27], v[42:43]
	v_fma_f64 v[82:83], v[82:83], -0.5, v[28:29]
	v_fma_f64 v[28:29], v[84:85], -0.5, v[28:29]
	;; [unrolled: 1-line block ×4, first 2 shown]
	v_add_f64_e64 v[86:87], v[50:51], -v[34:35]
	v_add_f64_e64 v[50:51], v[34:35], -v[50:51]
	;; [unrolled: 1-line block ×4, first 2 shown]
	v_fma_f64 v[92:93], v[92:93], -0.5, v[40:41]
	v_fma_f64 v[40:41], v[94:95], -0.5, v[40:41]
	;; [unrolled: 1-line block ×4, first 2 shown]
	v_add_f64_e64 v[96:97], v[44:45], -v[4:5]
	v_add_f64_e64 v[98:99], v[6:7], -v[46:47]
	v_add_f64_e32 v[102:103], v[104:105], v[102:103]
	v_add_f64_e64 v[104:105], v[8:9], -v[12:13]
	v_add_f64_e64 v[34:35], v[34:35], -v[46:47]
	s_load_b64 s[2:3], s[2:3], 0x0
	v_add_f64_e32 v[52:53], v[52:53], v[66:67]
	v_add_f64_e32 v[54:55], v[54:55], v[68:69]
	v_add_f64_e64 v[66:67], v[46:47], -v[6:7]
	v_add_f64_e64 v[68:69], v[24:25], -v[20:21]
	v_add_f64_e32 v[44:45], v[44:45], v[70:71]
	v_add_f64_e64 v[70:71], v[26:27], -v[10:11]
	v_add_f64_e32 v[58:59], v[58:59], v[106:107]
	v_add_f64_e32 v[106:107], v[110:111], v[108:109]
	v_add_f64_e64 v[108:109], v[22:23], -v[14:15]
	v_add_f64_e32 v[46:47], v[46:47], v[72:73]
	v_add_f64_e64 v[72:73], v[20:21], -v[24:25]
	v_add_f64_e64 v[24:25], v[24:25], -v[8:9]
	;; [unrolled: 1-line block ×3, first 2 shown]
	v_add_f64_e32 v[22:23], v[22:23], v[80:81]
	v_fma_f64 v[80:81], v[90:91], s[0:1], v[74:75]
	v_fma_f64 v[74:75], v[90:91], s[4:5], v[74:75]
	v_add_f64_e32 v[38:39], v[112:113], v[38:39]
	v_fma_f64 v[110:111], v[100:101], s[4:5], v[16:17]
	v_fma_f64 v[16:17], v[100:101], s[0:1], v[16:17]
	;; [unrolled: 1-line block ×4, first 2 shown]
	v_add_f64_e32 v[78:79], v[20:21], v[78:79]
	v_add_f64_e64 v[20:21], v[20:21], -v[12:13]
	v_add_f64_e32 v[88:89], v[88:89], v[116:117]
	v_add_f64_e32 v[96:97], v[96:97], v[118:119]
	;; [unrolled: 1-line block ×3, first 2 shown]
	v_fma_f64 v[116:117], v[34:35], s[4:5], v[28:29]
	v_fma_f64 v[28:29], v[34:35], s[0:1], v[28:29]
	v_add_f64_e32 v[0:1], v[0:1], v[52:53]
	v_add_f64_e32 v[54:55], v[2:3], v[54:55]
	;; [unrolled: 1-line block ×3, first 2 shown]
	v_add_f64_e64 v[66:67], v[12:13], -v[8:9]
	v_add_f64_e32 v[104:105], v[104:105], v[68:69]
	v_fma_f64 v[98:99], v[70:71], s[0:1], v[92:93]
	v_fma_f64 v[92:93], v[70:71], s[4:5], v[92:93]
	v_add_f64_e32 v[4:5], v[4:5], v[44:45]
	v_fma_f64 v[68:69], v[108:109], s[4:5], v[40:41]
	v_fma_f64 v[40:41], v[108:109], s[0:1], v[40:41]
	v_add_f64_e32 v[46:47], v[6:7], v[46:47]
	v_fma_f64 v[80:81], v[100:101], s[10:11], v[80:81]
	v_fma_f64 v[74:75], v[100:101], s[12:13], v[74:75]
	v_add_f64_e64 v[100:101], v[10:11], -v[14:15]
	v_fma_f64 v[110:111], v[90:91], s[10:11], v[110:111]
	v_fma_f64 v[16:17], v[90:91], s[12:13], v[16:17]
	v_fma_f64 v[90:91], v[56:57], s[4:5], v[76:77]
	v_fma_f64 v[76:77], v[56:57], s[0:1], v[76:77]
	v_fma_f64 v[112:113], v[34:35], s[10:11], v[112:113]
	v_fma_f64 v[34:35], v[34:35], s[12:13], v[82:83]
	v_fma_f64 v[82:83], v[36:37], s[0:1], v[18:19]
	v_fma_f64 v[18:19], v[36:37], s[4:5], v[18:19]
	v_fma_f64 v[118:119], v[20:21], s[0:1], v[42:43]
	v_fma_f64 v[42:43], v[20:21], s[4:5], v[42:43]
	v_add_f64_e32 v[12:13], v[12:13], v[78:79]
	v_fma_f64 v[116:117], v[114:115], s[10:11], v[116:117]
	v_fma_f64 v[28:29], v[114:115], s[12:13], v[28:29]
	v_add_f64_e64 v[114:115], v[14:15], -v[10:11]
	v_add_f64_e32 v[14:15], v[14:15], v[22:23]
	v_add_f64_e32 v[66:67], v[66:67], v[72:73]
	v_fma_f64 v[72:73], v[32:33], s[0:1], v[30:31]
	v_fma_f64 v[98:99], v[108:109], s[10:11], v[98:99]
	;; [unrolled: 1-line block ×10, first 2 shown]
	s_mov_b32 s0, 0x372fe950
	s_mov_b32 s1, 0x3fd3c6ef
	v_add_f64_e32 v[100:101], v[100:101], v[120:121]
	s_wait_alu 0xfffe
	v_fma_f64 v[74:75], v[102:103], s[0:1], v[74:75]
	v_fma_f64 v[16:17], v[58:59], s[0:1], v[16:17]
	;; [unrolled: 1-line block ×9, first 2 shown]
	v_and_b32_e32 v58, 3, v65
	v_add_f64_e32 v[8:9], v[8:9], v[12:13]
	v_add_nc_u32_e32 v59, 27, v64
	s_mov_b32 s4, 0xe8584caa
	v_fma_f64 v[28:29], v[96:97], s[0:1], v[28:29]
	v_add_f64_e32 v[26:27], v[114:115], v[26:27]
	v_mul_u32_u24_e32 v58, 0x195, v58
	v_add_f64_e32 v[82:83], v[10:11], v[14:15]
	s_mov_b32 s5, 0x3febb67a
	v_fma_f64 v[72:73], v[48:49], s[12:13], v[72:73]
	v_fma_f64 v[12:13], v[104:105], s[0:1], v[98:99]
	v_fma_f64 v[56:57], v[32:33], s[12:13], v[108:109]
	v_fma_f64 v[32:33], v[32:33], s[10:11], v[84:85]
	v_fma_f64 v[30:31], v[48:49], s[10:11], v[30:31]
	v_fma_f64 v[44:45], v[66:67], s[0:1], v[68:69]
	v_fma_f64 v[40:41], v[66:67], s[0:1], v[40:41]
	v_fma_f64 v[48:49], v[20:21], s[12:13], v[70:71]
	v_fma_f64 v[20:21], v[20:21], s[10:11], v[94:95]
	v_fma_f64 v[70:71], v[102:103], s[0:1], v[80:81]
	v_fma_f64 v[80:81], v[24:25], s[12:13], v[118:119]
	v_fma_f64 v[24:25], v[24:25], s[10:11], v[42:43]
	v_fma_f64 v[42:43], v[96:97], s[0:1], v[116:117]
	v_lshlrev_b32_e32 v68, 3, v58
	v_fma_f64 v[65:66], v[104:105], s[0:1], v[92:93]
	v_fma_f64 v[22:23], v[106:107], s[0:1], v[22:23]
	;; [unrolled: 1-line block ×3, first 2 shown]
	s_mov_b32 s11, 0xbfebb67a
	v_add_nc_u32_e32 v69, 0, v68
	v_fma_f64 v[52:53], v[38:39], s[0:1], v[52:53]
	v_fma_f64 v[88:89], v[38:39], s[0:1], v[18:19]
	v_and_b32_e32 v18, 0xff, v59
	s_wait_alu 0xfffe
	s_mov_b32 s10, s4
	v_mad_u32_u24 v67, v64, 40, v69
	s_delay_alu instid0(VALU_DEP_1)
	v_add_nc_u32_e32 v93, 0x880, v67
	v_add_nc_u32_e32 v92, 0x870, v67
	ds_store_2addr_b64 v67, v[0:1], v[70:71] offset1:1
	ds_store_2addr_b64 v67, v[76:77], v[16:17] offset0:2 offset1:3
	ds_store_2addr_b64 v67, v[4:5], v[78:79] offset0:135 offset1:136
	;; [unrolled: 1-line block ×4, first 2 shown]
	ds_store_2addr_b64 v93, v[44:45], v[40:41] offset1:1
	v_fma_f64 v[90:91], v[86:87], s[0:1], v[56:57]
	v_fma_f64 v[86:87], v[86:87], s[0:1], v[32:33]
	;; [unrolled: 1-line block ×8, first 2 shown]
	v_lshlrev_b32_e32 v0, 3, v64
	v_mul_lo_u16 v17, 0xcd, v18
	ds_store_2addr_b64 v92, v[8:9], v[12:13] offset1:1
	ds_store_b64 v67, v[65:66] offset:2192
	global_wb scope:SCOPE_SE
	s_wait_dscnt 0x0
	s_wait_kmcnt 0x0
	s_barrier_signal -1
	v_add3_u32 v57, 0, v0, v68
	v_add_nc_u32_e32 v56, v69, v0
	v_and_b32_e32 v0, 0xff, v64
	s_barrier_wait -1
	global_inv scope:SCOPE_SE
	v_add_nc_u32_e32 v58, 0x800, v57
	v_add_nc_u32_e32 v65, 0x400, v57
	v_mul_lo_u16 v4, 0xcd, v0
	ds_load_b64 v[8:9], v56
	ds_load_2addr_b64 v[10:13], v57 offset0:135 offset1:162
	ds_load_2addr_b64 v[26:29], v65 offset0:115 offset1:142
	ds_load_2addr_b64 v[0:3], v57 offset0:27 offset1:54
	v_lshrrev_b16 v17, 10, v17
	v_lshrrev_b16 v14, 10, v4
	ds_load_2addr_b64 v[30:33], v58 offset0:41 offset1:68
	ds_load_2addr_b64 v[34:37], v57 offset0:189 offset1:216
	;; [unrolled: 1-line block ×4, first 2 shown]
	global_wb scope:SCOPE_SE
	s_wait_dscnt 0x0
	s_barrier_signal -1
	s_barrier_wait -1
	v_mul_lo_u16 v15, v14, 5
	global_inv scope:SCOPE_SE
	ds_store_2addr_b64 v67, v[54:55], v[22:23] offset1:1
	ds_store_2addr_b64 v67, v[52:53], v[88:89] offset0:2 offset1:3
	ds_store_2addr_b64 v67, v[46:47], v[90:91] offset0:135 offset1:136
	;; [unrolled: 1-line block ×3, first 2 shown]
	v_sub_nc_u16 v15, v64, v15
	ds_store_2addr_b64 v67, v[84:85], v[86:87] offset0:4 offset1:139
	ds_store_2addr_b64 v93, v[80:81], v[24:25] offset1:1
	ds_store_2addr_b64 v92, v[82:83], v[48:49] offset1:1
	ds_store_b64 v67, v[19:20] offset:2192
	global_wb scope:SCOPE_SE
	s_wait_dscnt 0x0
	v_and_b32_e32 v16, 0xff, v15
	v_mul_lo_u16 v15, v17, 5
	s_barrier_signal -1
	s_barrier_wait -1
	global_inv scope:SCOPE_SE
	v_lshlrev_b32_e32 v20, 5, v16
	v_sub_nc_u16 v15, v59, v15
	v_add_nc_u32_e32 v66, 54, v64
	v_add_nc_u32_e32 v67, 0x51, v64
	;; [unrolled: 1-line block ×3, first 2 shown]
	s_clause 0x1
	global_load_b128 v[42:45], v20, s[8:9]
	global_load_b128 v[73:76], v20, s[8:9] offset:16
	v_and_b32_e32 v15, 0xff, v15
	v_and_b32_e32 v72, 0xff, v67
	;; [unrolled: 1-line block ×3, first 2 shown]
	v_mul_lo_u16 v18, 0x89, v18
	v_and_b32_e32 v117, 0xffff, v17
	v_lshlrev_b32_e32 v19, 5, v15
	v_mul_lo_u16 v22, 0xcd, v72
	v_and_b32_e32 v14, 0xffff, v14
	v_lshlrev_b32_e32 v15, 3, v15
	v_mad_u32_u24 v117, 0x78, v117, 0
	s_clause 0x1
	global_load_b128 v[46:49], v19, s[8:9]
	global_load_b128 v[50:53], v19, s[8:9] offset:16
	v_and_b32_e32 v19, 0xff, v66
	v_lshrrev_b16 v25, 10, v22
	v_mad_u32_u24 v14, 0x78, v14, 0
	v_cmp_gt_u32_e64 s0, 15, v64
	s_delay_alu instid0(VALU_DEP_4) | instskip(SKIP_2) | instid1(VALU_DEP_3)
	v_mul_lo_u16 v21, 0xcd, v19
	v_mul_lo_u16 v19, 0x89, v19
	v_and_b32_e32 v119, 0xffff, v25
	v_lshrrev_b16 v24, 10, v21
	v_mul_lo_u16 v21, 0xcd, v71
	s_delay_alu instid0(VALU_DEP_3) | instskip(NEXT) | instid1(VALU_DEP_3)
	v_mad_u32_u24 v119, 0x78, v119, 0
	v_mul_lo_u16 v22, v24, 5
	s_delay_alu instid0(VALU_DEP_3) | instskip(SKIP_2) | instid1(VALU_DEP_4)
	v_lshrrev_b16 v23, 10, v21
	v_mul_lo_u16 v21, v25, 5
	v_and_b32_e32 v118, 0xffff, v24
	v_sub_nc_u16 v22, v66, v22
	s_delay_alu instid0(VALU_DEP_4) | instskip(NEXT) | instid1(VALU_DEP_4)
	v_mul_lo_u16 v54, v23, 5
	v_sub_nc_u16 v21, v67, v21
	s_delay_alu instid0(VALU_DEP_4) | instskip(NEXT) | instid1(VALU_DEP_4)
	v_mad_u32_u24 v118, 0x78, v118, 0
	v_and_b32_e32 v20, 0xff, v22
	s_delay_alu instid0(VALU_DEP_4) | instskip(NEXT) | instid1(VALU_DEP_4)
	v_sub_nc_u16 v22, v70, v54
	v_and_b32_e32 v21, 0xff, v21
	s_delay_alu instid0(VALU_DEP_3) | instskip(NEXT) | instid1(VALU_DEP_3)
	v_lshlrev_b32_e32 v54, 5, v20
	v_and_b32_e32 v22, 0xff, v22
	s_delay_alu instid0(VALU_DEP_3)
	v_lshlrev_b32_e32 v55, 5, v21
	s_clause 0x1
	global_load_b128 v[77:80], v54, s[8:9] offset:16
	global_load_b128 v[81:84], v54, s[8:9]
	v_lshlrev_b32_e32 v54, 5, v22
	s_clause 0x3
	global_load_b128 v[85:88], v55, s[8:9]
	global_load_b128 v[89:92], v54, s[8:9]
	global_load_b128 v[93:96], v55, s[8:9] offset:16
	global_load_b128 v[97:100], v54, s[8:9] offset:16
	ds_load_2addr_b64 v[101:104], v57 offset0:135 offset1:162
	ds_load_2addr_b64 v[105:108], v58 offset0:41 offset1:68
	v_lshlrev_b32_e32 v22, 3, v22
	v_lshlrev_b32_e32 v20, 3, v20
	;; [unrolled: 1-line block ×3, first 2 shown]
	s_wait_loadcnt_dscnt 0x901
	v_mul_f64_e32 v[54:55], v[101:102], v[44:45]
	v_mul_f64_e32 v[44:45], v[10:11], v[44:45]
	s_wait_loadcnt 0x7
	v_mul_f64_e32 v[109:110], v[103:104], v[48:49]
	v_mul_f64_e32 v[48:49], v[12:13], v[48:49]
	s_wait_loadcnt 0x6
	v_mul_f64_e32 v[113:114], v[30:31], v[52:53]
	s_wait_dscnt 0x0
	v_mul_f64_e32 v[111:112], v[105:106], v[52:53]
	v_fma_f64 v[115:116], v[10:11], v[42:43], -v[54:55]
	v_fma_f64 v[101:102], v[101:102], v[42:43], v[44:45]
	ds_load_2addr_b64 v[42:45], v65 offset0:115 offset1:142
	ds_load_2addr_b64 v[52:55], v57 offset0:189 offset1:216
	v_fma_f64 v[109:110], v[12:13], v[46:47], -v[109:110]
	v_fma_f64 v[46:47], v[103:104], v[46:47], v[48:49]
	v_mul_f64_e32 v[48:49], v[28:29], v[75:76]
	v_fma_f64 v[10:11], v[105:106], v[50:51], v[113:114]
	v_fma_f64 v[111:112], v[30:31], v[50:51], -v[111:112]
	s_wait_dscnt 0x1
	v_mul_f64_e32 v[12:13], v[44:45], v[75:76]
	s_wait_loadcnt 0x5
	v_mul_f64_e32 v[75:76], v[107:108], v[79:80]
	s_wait_loadcnt 0x2
	v_mul_f64_e32 v[105:106], v[42:43], v[91:92]
	s_wait_dscnt 0x0
	v_mul_f64_e32 v[50:51], v[54:55], v[87:88]
	v_mul_f64_e32 v[103:104], v[52:53], v[83:84]
	v_fma_f64 v[113:114], v[28:29], v[73:74], -v[12:13]
	ds_load_2addr_b64 v[28:31], v58 offset0:95 offset1:122
	v_fma_f64 v[12:13], v[44:45], v[73:74], v[48:49]
	v_fma_f64 v[44:45], v[32:33], v[77:78], -v[75:76]
	v_mul_f64_e32 v[32:33], v[32:33], v[79:80]
	v_mul_f64_e32 v[73:74], v[26:27], v[91:92]
	v_fma_f64 v[79:80], v[26:27], v[89:90], -v[105:106]
	v_mul_f64_e32 v[48:49], v[34:35], v[83:84]
	v_fma_f64 v[50:51], v[36:37], v[85:86], -v[50:51]
	;; [unrolled: 2-line block ×3, first 2 shown]
	v_add_f64_e32 v[91:92], v[46:47], v[10:11]
	v_add_f64_e32 v[103:104], v[8:9], v[115:116]
	s_wait_loadcnt_dscnt 0x100
	v_mul_f64_e32 v[26:27], v[28:29], v[95:96]
	s_wait_loadcnt 0x0
	v_mul_f64_e32 v[75:76], v[30:31], v[99:100]
	v_fma_f64 v[32:33], v[107:108], v[77:78], v[32:33]
	v_fma_f64 v[42:43], v[42:43], v[89:90], v[73:74]
	v_lshrrev_b16 v73, 11, v18
	v_lshrrev_b16 v74, 11, v19
	v_lshlrev_b32_e32 v107, 3, v16
	v_fma_f64 v[36:37], v[54:55], v[85:86], v[36:37]
	v_add_f64_e32 v[85:86], v[101:102], v[12:13]
	v_mul_lo_u16 v120, v73, 15
	v_add_f64_e32 v[89:90], v[2:3], v[34:35]
	v_add_f64_e32 v[105:106], v[6:7], v[79:80]
	v_add3_u32 v121, v14, v107, v68
	v_and_b32_e32 v14, 0xffff, v23
	v_sub_nc_u16 v23, v59, v120
	s_delay_alu instid0(VALU_DEP_2)
	v_mad_u32_u24 v14, 0x78, v14, 0
	v_fma_f64 v[83:84], v[38:39], v[93:94], -v[26:27]
	v_mul_f64_e32 v[26:27], v[38:39], v[95:96]
	v_mul_f64_e32 v[38:39], v[40:41], v[99:100]
	v_fma_f64 v[87:88], v[40:41], v[97:98], -v[75:76]
	v_fma_f64 v[40:41], v[52:53], v[81:82], v[48:49]
	v_add_f64_e32 v[48:49], v[34:35], v[44:45]
	v_add_f64_e32 v[52:53], v[115:116], v[113:114]
	;; [unrolled: 1-line block ×4, first 2 shown]
	v_add_f64_e64 v[115:116], v[115:116], -v[113:114]
	v_add_f64_e64 v[34:35], v[34:35], -v[44:45]
	v_add_f64_e32 v[44:45], v[89:90], v[44:45]
	v_add_f64_e32 v[54:55], v[50:51], v[83:84]
	v_fma_f64 v[28:29], v[28:29], v[93:94], v[26:27]
	v_fma_f64 v[30:31], v[30:31], v[97:98], v[38:39]
	v_add_f64_e32 v[38:39], v[109:110], v[111:112]
	v_add_f64_e32 v[75:76], v[79:80], v[87:88]
	;; [unrolled: 1-line block ×3, first 2 shown]
	ds_load_2addr_b64 v[16:19], v57 offset0:27 offset1:54
	ds_load_2addr_b64 v[24:27], v57 offset0:81 offset1:108
	ds_load_b64 v[77:78], v56
	v_fma_f64 v[2:3], v[48:49], -0.5, v[2:3]
	v_fma_f64 v[8:9], v[52:53], -0.5, v[8:9]
	v_add_f64_e64 v[48:49], v[46:47], -v[10:11]
	v_add_f64_e64 v[52:53], v[40:41], -v[32:33]
	;; [unrolled: 1-line block ×5, first 2 shown]
	v_add_f64_e32 v[81:82], v[81:82], v[111:112]
	v_add_f64_e32 v[87:88], v[105:106], v[87:88]
	v_add3_u32 v105, v118, v20, v68
	v_add3_u32 v106, v119, v21, v68
	v_add_f64_e32 v[83:84], v[95:96], v[83:84]
	global_wb scope:SCOPE_SE
	s_wait_dscnt 0x0
	s_barrier_signal -1
	s_barrier_wait -1
	global_inv scope:SCOPE_SE
	v_add_f64_e32 v[46:47], v[16:17], v[46:47]
	v_fma_f64 v[16:17], v[91:92], -0.5, v[16:17]
	v_add_f64_e32 v[40:41], v[18:19], v[40:41]
	v_fma_f64 v[4:5], v[54:55], -0.5, v[4:5]
	v_add_f64_e32 v[97:98], v[36:37], v[28:29]
	v_add_f64_e32 v[99:100], v[42:43], v[30:31]
	v_fma_f64 v[0:1], v[38:39], -0.5, v[0:1]
	v_add_f64_e64 v[38:39], v[101:102], -v[12:13]
	v_fma_f64 v[6:7], v[75:76], -0.5, v[6:7]
	v_add_f64_e64 v[54:55], v[36:37], -v[28:29]
	v_add_f64_e64 v[107:108], v[42:43], -v[30:31]
	v_add_f64_e32 v[101:102], v[77:78], v[101:102]
	v_fma_f64 v[77:78], v[85:86], -0.5, v[77:78]
	v_mul_lo_u16 v75, v74, 15
	v_fma_f64 v[18:19], v[93:94], -0.5, v[18:19]
	v_add_f64_e32 v[36:37], v[24:25], v[36:37]
	v_add_f64_e32 v[42:43], v[26:27], v[42:43]
	v_add_f64_e32 v[85:86], v[103:104], v[113:114]
	v_sub_nc_u16 v76, v66, v75
	v_and_b32_e32 v75, 0xff, v23
	v_add3_u32 v104, v117, v15, v68
	v_and_b32_e32 v74, 0xffff, v74
	s_delay_alu instid0(VALU_DEP_4) | instskip(NEXT) | instid1(VALU_DEP_4)
	v_and_b32_e32 v76, 0xff, v76
	v_lshlrev_b32_e32 v103, 5, v75
	v_add_f64_e32 v[20:21], v[46:47], v[10:11]
	s_wait_alu 0xfffe
	v_fma_f64 v[93:94], v[109:110], s[10:11], v[16:17]
	v_fma_f64 v[16:17], v[109:110], s[4:5], v[16:17]
	v_add_f64_e32 v[40:41], v[40:41], v[32:33]
	v_fma_f64 v[23:24], v[97:98], -0.5, v[24:25]
	v_fma_f64 v[25:26], v[99:100], -0.5, v[26:27]
	v_fma_f64 v[89:90], v[38:39], s[4:5], v[8:9]
	v_fma_f64 v[8:9], v[38:39], s[10:11], v[8:9]
	v_fma_f64 v[38:39], v[48:49], s[4:5], v[0:1]
	v_fma_f64 v[0:1], v[48:49], s[10:11], v[0:1]
	v_fma_f64 v[48:49], v[52:53], s[4:5], v[2:3]
	v_fma_f64 v[2:3], v[52:53], s[10:11], v[2:3]
	v_fma_f64 v[52:53], v[54:55], s[4:5], v[4:5]
	v_fma_f64 v[4:5], v[54:55], s[10:11], v[4:5]
	v_fma_f64 v[54:55], v[107:108], s[4:5], v[6:7]
	v_fma_f64 v[6:7], v[107:108], s[10:11], v[6:7]
	v_add3_u32 v107, v14, v22, v68
	v_add_f64_e32 v[14:15], v[101:102], v[12:13]
	v_fma_f64 v[91:92], v[115:116], s[10:11], v[77:78]
	v_fma_f64 v[77:78], v[115:116], s[4:5], v[77:78]
	;; [unrolled: 1-line block ×4, first 2 shown]
	v_add_f64_e32 v[27:28], v[36:37], v[28:29]
	v_add_f64_e32 v[42:43], v[42:43], v[30:31]
	ds_store_2addr_b64 v121, v[85:86], v[89:90] offset1:5
	ds_store_b64 v121, v[8:9] offset:80
	ds_store_2addr_b64 v104, v[81:82], v[38:39] offset1:5
	ds_store_b64 v104, v[0:1] offset:80
	;; [unrolled: 2-line block ×5, first 2 shown]
	v_fma_f64 v[97:98], v[50:51], s[10:11], v[23:24]
	v_fma_f64 v[50:51], v[50:51], s[4:5], v[23:24]
	v_fma_f64 v[99:100], v[79:80], s[10:11], v[25:26]
	v_fma_f64 v[79:80], v[79:80], s[4:5], v[25:26]
	global_wb scope:SCOPE_SE
	s_wait_dscnt 0x0
	s_barrier_signal -1
	s_barrier_wait -1
	global_inv scope:SCOPE_SE
	ds_load_b64 v[8:9], v56
	ds_load_2addr_b64 v[22:25], v57 offset0:135 offset1:162
	ds_load_2addr_b64 v[30:33], v65 offset0:115 offset1:142
	;; [unrolled: 1-line block ×7, first 2 shown]
	global_wb scope:SCOPE_SE
	s_wait_dscnt 0x0
	s_barrier_signal -1
	s_barrier_wait -1
	global_inv scope:SCOPE_SE
	ds_store_2addr_b64 v121, v[14:15], v[91:92] offset1:5
	ds_store_b64 v121, v[77:78] offset:80
	ds_store_2addr_b64 v104, v[20:21], v[93:94] offset1:5
	ds_store_b64 v104, v[16:17] offset:80
	;; [unrolled: 2-line block ×5, first 2 shown]
	global_wb scope:SCOPE_SE
	s_wait_dscnt 0x0
	s_barrier_signal -1
	s_barrier_wait -1
	global_inv scope:SCOPE_SE
	global_load_b128 v[16:19], v103, s[8:9] offset:176
	v_add_nc_u32_e32 v14, -15, v64
	v_dual_mov_b32 v29, 0 :: v_dual_lshlrev_b32 v20, 5, v76
	v_mul_lo_u16 v21, 0x89, v71
	v_lshlrev_b32_e32 v76, 3, v76
	s_wait_alu 0xf1ff
	v_cndmask_b32_e64 v82, v14, v64, s0
	global_load_b128 v[38:41], v20, s[8:9] offset:176
	v_lshrrev_b16 v80, 11, v21
	v_lshlrev_b32_e32 v28, 1, v82
	v_lshlrev_b32_e32 v82, 3, v82
	s_delay_alu instid0(VALU_DEP_3) | instskip(SKIP_1) | instid1(VALU_DEP_4)
	v_mul_lo_u16 v21, v80, 15
	v_and_b32_e32 v80, 0xffff, v80
	v_lshlrev_b64_e32 v[14:15], 4, v[28:29]
	v_subrev_nc_u32_e32 v28, 18, v64
	s_delay_alu instid0(VALU_DEP_4) | instskip(NEXT) | instid1(VALU_DEP_3)
	v_sub_nc_u16 v21, v70, v21
	v_add_co_u32 v14, s0, s8, v14
	s_wait_alu 0xf1ff
	s_delay_alu instid0(VALU_DEP_4)
	v_add_co_ci_u32_e64 v15, s0, s9, v15, s0
	s_clause 0x2
	global_load_b128 v[48:51], v[14:15], off offset:160
	global_load_b128 v[52:55], v103, s[8:9] offset:160
	global_load_b128 v[83:86], v20, s[8:9] offset:160
	v_mul_lo_u16 v20, 0x89, v72
	v_and_b32_e32 v77, 0xff, v21
	v_cmp_lt_u32_e64 s0, 14, v64
	s_delay_alu instid0(VALU_DEP_3) | instskip(NEXT) | instid1(VALU_DEP_3)
	v_lshrrev_b16 v81, 11, v20
	v_lshlrev_b32_e32 v21, 5, v77
	v_lshlrev_b32_e32 v77, 3, v77
	s_delay_alu instid0(VALU_DEP_3) | instskip(NEXT) | instid1(VALU_DEP_1)
	v_mul_lo_u16 v20, v81, 15
	v_sub_nc_u16 v20, v67, v20
	s_delay_alu instid0(VALU_DEP_1) | instskip(NEXT) | instid1(VALU_DEP_1)
	v_and_b32_e32 v79, 0xff, v20
	v_lshlrev_b32_e32 v20, 5, v79
	s_clause 0x4
	global_load_b128 v[87:90], v20, s[8:9] offset:160
	global_load_b128 v[91:94], v[14:15], off offset:176
	global_load_b128 v[95:98], v21, s[8:9] offset:160
	global_load_b128 v[99:102], v20, s[8:9] offset:176
	;; [unrolled: 1-line block ×3, first 2 shown]
	ds_load_2addr_b64 v[107:110], v58 offset0:41 offset1:68
	ds_load_2addr_b64 v[111:114], v57 offset0:135 offset1:162
	s_wait_loadcnt_dscnt 0x901
	v_mul_f64_e32 v[14:15], v[107:108], v[18:19]
	v_mul_f64_e32 v[18:19], v[10:11], v[18:19]
	s_wait_loadcnt 0x8
	v_mul_f64_e32 v[20:21], v[109:110], v[40:41]
	v_mul_f64_e32 v[26:27], v[12:13], v[40:41]
	ds_load_2addr_b64 v[40:43], v57 offset0:189 offset1:216
	s_wait_loadcnt_dscnt 0x701
	v_mul_f64_e32 v[119:120], v[111:112], v[50:51]
	v_mul_f64_e32 v[50:51], v[22:23], v[50:51]
	s_wait_loadcnt_dscnt 0x500
	v_mul_f64_e32 v[121:122], v[40:41], v[85:86]
	v_mul_f64_e32 v[85:86], v[34:35], v[85:86]
	v_fma_f64 v[14:15], v[10:11], v[16:17], -v[14:15]
	v_fma_f64 v[10:11], v[107:108], v[16:17], v[18:19]
	v_mul_f64_e32 v[18:19], v[113:114], v[54:55]
	v_mul_f64_e32 v[54:55], v[24:25], v[54:55]
	v_fma_f64 v[16:17], v[12:13], v[38:39], -v[20:21]
	v_fma_f64 v[12:13], v[109:110], v[38:39], v[26:27]
	ds_load_2addr_b64 v[107:110], v65 offset0:115 offset1:142
	ds_load_2addr_b64 v[115:118], v58 offset0:95 offset1:122
	v_fma_f64 v[20:21], v[22:23], v[48:49], -v[119:120]
	v_mad_u32_u24 v119, 0x168, v74, 0
	v_fma_f64 v[22:23], v[34:35], v[83:84], -v[121:122]
	v_fma_f64 v[40:41], v[40:41], v[83:84], v[85:86]
	s_wait_loadcnt_dscnt 0x100
	v_mul_f64_e32 v[34:35], v[115:116], v[101:102]
	s_wait_loadcnt 0x0
	v_mul_f64_e32 v[83:84], v[117:118], v[105:106]
	v_mul_f64_e32 v[85:86], v[32:33], v[93:94]
	v_lshlrev_b32_e32 v121, 3, v75
	v_mad_u32_u24 v120, 0x168, v80, 0
	v_lshlrev_b32_e32 v122, 3, v79
	v_fma_f64 v[18:19], v[24:25], v[52:53], -v[18:19]
	v_mul_f64_e32 v[24:25], v[42:43], v[89:90]
	v_fma_f64 v[38:39], v[113:114], v[52:53], v[54:55]
	v_mul_f64_e32 v[52:53], v[109:110], v[93:94]
	v_mul_f64_e32 v[54:55], v[107:108], v[97:98]
	v_add_f64_e32 v[113:114], v[8:9], v[20:21]
	v_fma_f64 v[26:27], v[36:37], v[87:88], -v[24:25]
	v_mul_f64_e32 v[36:37], v[36:37], v[89:90]
	v_fma_f64 v[24:25], v[32:33], v[91:92], -v[52:53]
	v_fma_f64 v[32:33], v[30:31], v[95:96], -v[54:55]
	v_mul_f64_e32 v[54:55], v[44:45], v[101:102]
	v_mul_f64_e32 v[52:53], v[30:31], v[97:98]
	v_fma_f64 v[30:31], v[44:45], v[99:100], -v[34:35]
	v_fma_f64 v[44:45], v[46:47], v[103:104], -v[83:84]
	v_mul_f64_e32 v[83:84], v[46:47], v[105:106]
	v_fma_f64 v[46:47], v[111:112], v[48:49], v[50:51]
	v_fma_f64 v[34:35], v[109:110], v[91:92], v[85:86]
	v_add_f64_e32 v[93:94], v[38:39], v[10:11]
	v_add_f64_e32 v[105:106], v[6:7], v[22:23]
	v_fma_f64 v[48:49], v[42:43], v[87:88], v[36:37]
	v_add_f64_e32 v[91:92], v[20:21], v[24:25]
	s_wait_alu 0xf1ff
	v_cndmask_b32_e64 v87, 0, 0x168, s0
	v_fma_f64 v[36:37], v[115:116], v[99:100], v[54:55]
	v_fma_f64 v[50:51], v[107:108], v[95:96], v[52:53]
	v_add_f64_e32 v[54:55], v[22:23], v[16:17]
	v_add_f64_e32 v[95:96], v[40:41], v[12:13]
	v_fma_f64 v[42:43], v[117:118], v[103:104], v[83:84]
	v_add_f64_e32 v[52:53], v[18:19], v[14:15]
	v_add_f64_e32 v[103:104], v[46:47], v[34:35]
	;; [unrolled: 1-line block ×3, first 2 shown]
	v_cmp_gt_u32_e64 s0, 18, v64
	v_add_f64_e32 v[99:100], v[32:33], v[44:45]
	v_dual_mov_b32 v88, v29 :: v_dual_add_nc_u32 v89, 0, v87
	ds_load_2addr_b64 v[83:86], v57 offset0:27 offset1:54
	s_wait_alu 0xf1ff
	v_cndmask_b32_e64 v78, v28, v59, s0
	v_mul_lo_u16 v115, 0x6d, v72
	v_and_b32_e32 v117, 0xffff, v73
	v_add3_u32 v116, v89, v82, v68
	v_add_f64_e64 v[20:21], v[20:21], -v[24:25]
	v_lshlrev_b32_e32 v87, 1, v78
	v_and_b32_e32 v118, 0xffff, v81
	v_add_f64_e32 v[81:82], v[4:5], v[18:19]
	v_add_f64_e64 v[18:19], v[18:19], -v[14:15]
	v_add_f64_e64 v[22:23], v[22:23], -v[16:17]
	v_lshlrev_b64_e32 v[101:102], 4, v[87:88]
	ds_load_2addr_b64 v[87:90], v57 offset0:81 offset1:108
	ds_load_b64 v[72:73], v56
	v_add_f64_e32 v[24:25], v[113:114], v[24:25]
	v_add_f64_e32 v[16:17], v[105:106], v[16:17]
	v_lshlrev_b32_e32 v28, 1, v64
	v_mad_u32_u24 v117, 0x168, v117, 0
	v_mad_u32_u24 v118, 0x168, v118, 0
	global_wb scope:SCOPE_SE
	s_wait_dscnt 0x0
	s_barrier_signal -1
	v_add_f64_e32 v[107:108], v[83:84], v[38:39]
	v_fma_f64 v[83:84], v[93:94], -0.5, v[83:84]
	v_add_f64_e64 v[38:39], v[38:39], -v[10:11]
	s_barrier_wait -1
	v_fma_f64 v[8:9], v[91:92], -0.5, v[8:9]
	v_add_f64_e64 v[91:92], v[46:47], -v[34:35]
	v_add_f64_e32 v[109:110], v[48:49], v[36:37]
	global_inv scope:SCOPE_SE
	v_fma_f64 v[6:7], v[54:55], -0.5, v[6:7]
	v_add_f64_e32 v[54:55], v[2:3], v[32:33]
	v_add_f64_e32 v[111:112], v[50:51], v[42:43]
	v_fma_f64 v[93:94], v[95:96], -0.5, v[85:86]
	v_add_f64_e64 v[95:96], v[48:49], -v[36:37]
	v_add_f64_e32 v[46:47], v[72:73], v[46:47]
	v_add_f64_e32 v[48:49], v[87:88], v[48:49]
	v_fma_f64 v[72:73], v[103:104], -0.5, v[72:73]
	v_fma_f64 v[4:5], v[52:53], -0.5, v[4:5]
	v_add_f64_e32 v[52:53], v[0:1], v[26:27]
	v_fma_f64 v[0:1], v[97:98], -0.5, v[0:1]
	v_add_f64_e64 v[97:98], v[50:51], -v[42:43]
	v_add_f64_e32 v[50:51], v[89:90], v[50:51]
	v_add_f64_e32 v[85:86], v[85:86], v[40:41]
	v_add_f64_e64 v[40:41], v[40:41], -v[12:13]
	v_fma_f64 v[2:3], v[99:100], -0.5, v[2:3]
	v_add_f64_e64 v[26:27], v[26:27], -v[30:31]
	v_add_f64_e64 v[32:33], v[32:33], -v[44:45]
	v_add_f64_e32 v[14:15], v[81:82], v[14:15]
	v_add_co_u32 v99, s0, s8, v101
	s_wait_alu 0xf1ff
	v_add_co_ci_u32_e64 v100, s0, s9, v102, s0
	v_lshlrev_b64_e32 v[101:102], 4, v[28:29]
	v_add_nc_u32_e32 v28, 18, v28
	v_fma_f64 v[74:75], v[109:110], -0.5, v[87:88]
	v_add_f64_e32 v[44:45], v[54:55], v[44:45]
	v_fma_f64 v[79:80], v[111:112], -0.5, v[89:90]
	v_fma_f64 v[54:55], v[91:92], s[4:5], v[8:9]
	v_fma_f64 v[8:9], v[91:92], s[10:11], v[8:9]
	v_add_f64_e32 v[34:35], v[46:47], v[34:35]
	v_add_f64_e32 v[36:37], v[48:49], v[36:37]
	v_fma_f64 v[48:49], v[20:21], s[10:11], v[72:73]
	v_fma_f64 v[81:82], v[38:39], s[4:5], v[4:5]
	v_add_f64_e32 v[46:47], v[107:108], v[10:11]
	v_fma_f64 v[4:5], v[38:39], s[10:11], v[4:5]
	v_fma_f64 v[89:90], v[22:23], s[4:5], v[93:94]
	;; [unrolled: 3-line block ×3, first 2 shown]
	v_fma_f64 v[83:84], v[18:19], s[4:5], v[83:84]
	v_fma_f64 v[38:39], v[40:41], s[4:5], v[6:7]
	;; [unrolled: 1-line block ×7, first 2 shown]
	v_add3_u32 v96, v119, v76, v68
	v_add3_u32 v98, v120, v77, v68
	v_add_f64_e32 v[76:77], v[85:86], v[12:13]
	v_fma_f64 v[85:86], v[22:23], s[10:11], v[93:94]
	v_add_f64_e32 v[52:53], v[52:53], v[30:31]
	v_add_co_u32 v30, s0, s8, v101
	s_wait_alu 0xf1ff
	v_add_co_ci_u32_e64 v31, s0, s9, v102, s0
	v_add3_u32 v95, v117, v121, v68
	v_add3_u32 v97, v118, v122, v68
	ds_store_2addr_b64 v116, v[24:25], v[54:55] offset1:15
	ds_store_b64 v116, v[8:9] offset:240
	ds_store_2addr_b64 v95, v[14:15], v[81:82] offset1:15
	ds_store_b64 v95, v[4:5] offset:240
	;; [unrolled: 2-line block ×5, first 2 shown]
	v_fma_f64 v[91:92], v[26:27], s[10:11], v[74:75]
	v_fma_f64 v[74:75], v[26:27], s[4:5], v[74:75]
	;; [unrolled: 1-line block ×4, first 2 shown]
	global_wb scope:SCOPE_SE
	s_wait_dscnt 0x0
	s_barrier_signal -1
	s_barrier_wait -1
	global_inv scope:SCOPE_SE
	ds_load_b64 v[103:104], v56
	ds_load_2addr_b64 v[0:3], v57 offset0:135 offset1:162
	ds_load_2addr_b64 v[4:7], v65 offset0:115 offset1:142
	ds_load_2addr_b64 v[8:11], v57 offset0:27 offset1:54
	ds_load_2addr_b64 v[12:15], v58 offset0:41 offset1:68
	ds_load_2addr_b64 v[16:19], v57 offset0:189 offset1:216
	ds_load_2addr_b64 v[20:23], v57 offset0:81 offset1:108
	ds_load_2addr_b64 v[24:27], v58 offset0:95 offset1:122
	global_wb scope:SCOPE_SE
	s_wait_dscnt 0x0
	s_barrier_signal -1
	s_barrier_wait -1
	global_inv scope:SCOPE_SE
	ds_store_2addr_b64 v116, v[34:35], v[48:49] offset1:15
	ds_store_b64 v116, v[50:51] offset:240
	ds_store_2addr_b64 v95, v[46:47], v[72:73] offset1:15
	ds_store_b64 v95, v[83:84] offset:240
	;; [unrolled: 2-line block ×5, first 2 shown]
	global_wb scope:SCOPE_SE
	s_wait_dscnt 0x0
	s_barrier_signal -1
	s_barrier_wait -1
	global_inv scope:SCOPE_SE
	global_load_b128 v[32:35], v[30:31], off offset:640
	v_mul_lo_u16 v40, 0x6d, v71
	v_lshrrev_b16 v41, 8, v115
	global_load_b128 v[36:39], v[99:100], off offset:640
	v_lshrrev_b16 v44, 8, v40
	v_sub_nc_u16 v40, v67, v41
	s_delay_alu instid0(VALU_DEP_2) | instskip(NEXT) | instid1(VALU_DEP_2)
	v_sub_nc_u16 v42, v70, v44
	v_lshrrev_b16 v40, 1, v40
	s_delay_alu instid0(VALU_DEP_2) | instskip(NEXT) | instid1(VALU_DEP_2)
	v_lshrrev_b16 v42, 1, v42
	v_and_b32_e32 v40, 0x7f, v40
	s_delay_alu instid0(VALU_DEP_2) | instskip(NEXT) | instid1(VALU_DEP_2)
	v_and_b32_e32 v45, 0x7f, v42
	v_add_nc_u16 v46, v40, v41
	global_load_b128 v[40:43], v[99:100], off offset:656
	v_add_nc_u16 v44, v45, v44
	v_lshrrev_b16 v77, 5, v46
	s_delay_alu instid0(VALU_DEP_2) | instskip(NEXT) | instid1(VALU_DEP_2)
	v_lshrrev_b16 v44, 5, v44
	v_mul_lo_u16 v45, v77, 45
	v_and_b32_e32 v77, 0xffff, v77
	s_delay_alu instid0(VALU_DEP_3) | instskip(NEXT) | instid1(VALU_DEP_3)
	v_mul_lo_u16 v46, v44, 45
	v_sub_nc_u16 v47, v67, v45
	v_lshlrev_b64_e32 v[44:45], 4, v[28:29]
	s_delay_alu instid0(VALU_DEP_3) | instskip(NEXT) | instid1(VALU_DEP_3)
	v_sub_nc_u16 v28, v70, v46
	v_and_b32_e32 v115, 0xff, v47
	s_delay_alu instid0(VALU_DEP_3) | instskip(SKIP_1) | instid1(VALU_DEP_4)
	v_add_co_u32 v48, s0, s8, v44
	s_wait_alu 0xf1ff
	v_add_co_ci_u32_e64 v49, s0, s9, v45, s0
	v_and_b32_e32 v28, 0xff, v28
	v_lshlrev_b32_e32 v75, 5, v115
	v_cmp_lt_u32_e64 s0, 17, v64
	global_load_b128 v[44:47], v[48:49], off offset:656
	v_lshlrev_b32_e32 v76, 5, v28
	s_clause 0x5
	global_load_b128 v[48:51], v[48:49], off offset:640
	global_load_b128 v[52:55], v75, s[8:9] offset:640
	global_load_b128 v[71:74], v[30:31], off offset:656
	global_load_b128 v[79:82], v76, s[8:9] offset:640
	global_load_b128 v[83:86], v75, s[8:9] offset:656
	;; [unrolled: 1-line block ×3, first 2 shown]
	ds_load_2addr_b64 v[91:94], v57 offset0:135 offset1:162
	ds_load_2addr_b64 v[95:98], v58 offset0:41 offset1:68
	;; [unrolled: 1-line block ×3, first 2 shown]
	v_lshl_add_u32 v28, v28, 3, v69
	s_wait_loadcnt_dscnt 0x902
	v_mul_f64_e32 v[75:76], v[91:92], v[34:35]
	v_mul_f64_e32 v[34:35], v[0:1], v[34:35]
	s_wait_loadcnt 0x8
	v_mul_f64_e32 v[105:106], v[93:94], v[38:39]
	v_mul_f64_e32 v[38:39], v[2:3], v[38:39]
	s_wait_loadcnt_dscnt 0x701
	v_mul_f64_e32 v[107:108], v[95:96], v[42:43]
	v_mul_f64_e32 v[42:43], v[12:13], v[42:43]
	v_fma_f64 v[75:76], v[0:1], v[32:33], -v[75:76]
	v_fma_f64 v[91:92], v[91:92], v[32:33], v[34:35]
	ds_load_2addr_b64 v[32:35], v65 offset0:115 offset1:142
	v_fma_f64 v[105:106], v[2:3], v[36:37], -v[105:106]
	ds_load_2addr_b64 v[0:3], v58 offset0:95 offset1:122
	v_fma_f64 v[36:37], v[93:94], v[36:37], v[38:39]
	s_wait_loadcnt_dscnt 0x502
	v_mul_f64_e32 v[38:39], v[99:100], v[50:51]
	v_mul_f64_e32 v[109:110], v[97:98], v[46:47]
	s_wait_loadcnt 0x4
	v_mul_f64_e32 v[93:94], v[101:102], v[54:55]
	s_wait_loadcnt_dscnt 0x301
	v_mul_f64_e32 v[111:112], v[34:35], v[73:74]
	s_wait_loadcnt 0x2
	v_mul_f64_e32 v[113:114], v[32:33], v[81:82]
	v_fma_f64 v[12:13], v[12:13], v[40:41], -v[107:108]
	v_fma_f64 v[40:41], v[95:96], v[40:41], v[42:43]
	s_wait_loadcnt_dscnt 0x100
	v_mul_f64_e32 v[42:43], v[0:1], v[85:86]
	s_wait_loadcnt 0x0
	v_mul_f64_e32 v[95:96], v[2:3], v[89:90]
	v_fma_f64 v[107:108], v[14:15], v[44:45], -v[109:110]
	v_mul_f64_e32 v[14:15], v[14:15], v[46:47]
	v_mul_f64_e32 v[46:47], v[16:17], v[50:51]
	;; [unrolled: 1-line block ×3, first 2 shown]
	v_fma_f64 v[16:17], v[16:17], v[48:49], -v[38:39]
	v_fma_f64 v[38:39], v[18:19], v[52:53], -v[93:94]
	v_mul_f64_e32 v[18:19], v[18:19], v[54:55]
	v_fma_f64 v[54:55], v[6:7], v[71:72], -v[111:112]
	v_mul_f64_e32 v[6:7], v[24:25], v[85:86]
	;; [unrolled: 2-line block ×3, first 2 shown]
	v_fma_f64 v[24:25], v[24:25], v[83:84], -v[42:43]
	v_fma_f64 v[42:43], v[26:27], v[87:88], -v[95:96]
	v_mul_f64_e32 v[26:27], v[26:27], v[89:90]
	v_add_f64_e32 v[85:86], v[36:37], v[40:41]
	v_add_f64_e32 v[89:90], v[8:9], v[105:106]
	v_fma_f64 v[14:15], v[97:98], v[44:45], v[14:15]
	v_fma_f64 v[44:45], v[99:100], v[48:49], v[46:47]
	;; [unrolled: 1-line block ×3, first 2 shown]
	v_add_f64_e32 v[50:51], v[105:106], v[12:13]
	v_add_f64_e32 v[97:98], v[103:104], v[75:76]
	v_fma_f64 v[18:19], v[101:102], v[52:53], v[18:19]
	v_add_f64_e32 v[52:53], v[16:17], v[107:108]
	v_add_f64_e32 v[99:100], v[10:11], v[16:17]
	;; [unrolled: 1-line block ×3, first 2 shown]
	v_fma_f64 v[46:47], v[0:1], v[83:84], v[6:7]
	v_add_f64_e32 v[101:102], v[20:21], v[38:39]
	v_fma_f64 v[32:33], v[32:33], v[79:80], v[4:5]
	v_add_f64_e32 v[71:72], v[38:39], v[24:25]
	v_add_f64_e32 v[79:80], v[73:74], v[42:43]
	v_fma_f64 v[26:27], v[2:3], v[87:88], v[26:27]
	ds_load_2addr_b64 v[0:3], v57 offset0:27 offset1:54
	ds_load_2addr_b64 v[4:7], v57 offset0:81 offset1:108
	ds_load_b64 v[81:82], v56
	v_add_f64_e32 v[109:110], v[22:23], v[73:74]
	v_add_f64_e64 v[75:76], v[75:76], -v[54:55]
	v_add_f64_e64 v[16:17], v[16:17], -v[107:108]
	;; [unrolled: 1-line block ×4, first 2 shown]
	global_wb scope:SCOPE_SE
	s_wait_dscnt 0x0
	s_barrier_signal -1
	s_barrier_wait -1
	global_inv scope:SCOPE_SE
	v_add_f64_e32 v[87:88], v[44:45], v[14:15]
	v_add_f64_e32 v[83:84], v[91:92], v[34:35]
	v_add_f64_e64 v[111:112], v[91:92], -v[34:35]
	v_fma_f64 v[8:9], v[50:51], -0.5, v[8:9]
	v_add_f64_e64 v[50:51], v[44:45], -v[14:15]
	v_fma_f64 v[10:11], v[52:53], -0.5, v[10:11]
	v_add_f64_e32 v[44:45], v[2:3], v[44:45]
	v_fma_f64 v[48:49], v[48:49], -0.5, v[103:104]
	v_add_f64_e32 v[93:94], v[18:19], v[46:47]
	v_add_f64_e64 v[103:104], v[36:37], -v[40:41]
	v_add_f64_e64 v[52:53], v[18:19], -v[46:47]
	v_fma_f64 v[20:21], v[71:72], -0.5, v[20:21]
	v_fma_f64 v[22:23], v[79:80], -0.5, v[22:23]
	v_add_f64_e32 v[95:96], v[32:33], v[26:27]
	v_add_f64_e64 v[71:72], v[32:33], -v[26:27]
	s_wait_alu 0xf1ff
	v_cndmask_b32_e64 v79, 0, 0x438, s0
	v_add_f64_e32 v[36:37], v[0:1], v[36:37]
	v_fma_f64 v[0:1], v[85:86], -0.5, v[0:1]
	v_add_f64_e32 v[18:19], v[4:5], v[18:19]
	v_add_f64_e32 v[32:33], v[6:7], v[32:33]
	v_add_nc_u32_e32 v113, 0, v79
	v_add_f64_e32 v[79:80], v[81:82], v[91:92]
	v_add_f64_e64 v[91:92], v[105:106], -v[12:13]
	v_add_f64_e32 v[54:55], v[97:98], v[54:55]
	v_add_f64_e32 v[12:13], v[89:90], v[12:13]
	;; [unrolled: 1-line block ×4, first 2 shown]
	v_add_nc_u32_e32 v97, 0x800, v28
	v_fma_f64 v[2:3], v[87:88], -0.5, v[2:3]
	v_fma_f64 v[81:82], v[83:84], -0.5, v[81:82]
	v_add_f64_e32 v[83:84], v[99:100], v[107:108]
	v_fma_f64 v[89:90], v[50:51], s[4:5], v[10:11]
	v_fma_f64 v[10:11], v[50:51], s[10:11], v[10:11]
	;; [unrolled: 1-line block ×3, first 2 shown]
	v_fma_f64 v[4:5], v[93:94], -0.5, v[4:5]
	v_fma_f64 v[48:49], v[111:112], s[10:11], v[48:49]
	v_fma_f64 v[87:88], v[103:104], s[4:5], v[8:9]
	;; [unrolled: 1-line block ×4, first 2 shown]
	v_fma_f64 v[6:7], v[95:96], -0.5, v[6:7]
	v_fma_f64 v[20:21], v[52:53], s[10:11], v[20:21]
	v_fma_f64 v[52:53], v[71:72], s[4:5], v[22:23]
	;; [unrolled: 1-line block ×3, first 2 shown]
	v_lshlrev_b32_e32 v71, 3, v78
	v_mad_u32_u24 v72, 0x438, v77, 0
	v_lshlrev_b32_e32 v77, 3, v115
	v_add_f64_e32 v[36:37], v[36:37], v[40:41]
	v_add_f64_e32 v[34:35], v[79:80], v[34:35]
	v_add3_u32 v95, v113, v71, v68
	v_add_f64_e32 v[40:41], v[44:45], v[14:15]
	v_add3_u32 v96, v72, v77, v68
	v_fma_f64 v[77:78], v[91:92], s[4:5], v[0:1]
	v_add_f64_e32 v[44:45], v[18:19], v[46:47]
	v_add_f64_e32 v[46:47], v[32:33], v[26:27]
	ds_store_2addr_b64 v57, v[54:55], v[85:86] offset1:45
	ds_store_b64 v57, v[48:49] offset:720
	ds_store_2addr_b64 v95, v[12:13], v[87:88] offset1:45
	ds_store_b64 v95, v[8:9] offset:720
	ds_store_2addr_b64 v57, v[83:84], v[89:90] offset0:144 offset1:189
	ds_store_b64 v57, v[10:11] offset:1872
	ds_store_2addr_b64 v96, v[24:25], v[50:51] offset1:45
	ds_store_b64 v96, v[20:21] offset:720
	ds_store_2addr_b64 v97, v[42:43], v[52:53] offset0:14 offset1:59
	ds_store_b64 v28, v[22:23] offset:2880
	v_fma_f64 v[68:69], v[75:76], s[10:11], v[81:82]
	v_fma_f64 v[71:72], v[75:76], s[4:5], v[81:82]
	;; [unrolled: 1-line block ×9, first 2 shown]
	global_wb scope:SCOPE_SE
	s_wait_dscnt 0x0
	s_barrier_signal -1
	s_barrier_wait -1
	global_inv scope:SCOPE_SE
	ds_load_b64 v[32:33], v56
	ds_load_2addr_b64 v[16:19], v57 offset0:135 offset1:162
	ds_load_2addr_b64 v[24:27], v65 offset0:115 offset1:142
	;; [unrolled: 1-line block ×7, first 2 shown]
	global_wb scope:SCOPE_SE
	s_wait_dscnt 0x0
	s_barrier_signal -1
	s_barrier_wait -1
	global_inv scope:SCOPE_SE
	ds_store_2addr_b64 v57, v[34:35], v[68:69] offset1:45
	ds_store_b64 v57, v[71:72] offset:720
	ds_store_2addr_b64 v95, v[36:37], v[75:76] offset1:45
	ds_store_b64 v95, v[77:78] offset:720
	ds_store_2addr_b64 v57, v[40:41], v[79:80] offset0:144 offset1:189
	ds_store_b64 v57, v[81:82] offset:1872
	ds_store_2addr_b64 v96, v[44:45], v[91:92] offset1:45
	ds_store_b64 v96, v[38:39] offset:720
	ds_store_2addr_b64 v97, v[46:47], v[93:94] offset0:14 offset1:59
	ds_store_b64 v28, v[73:74] offset:2880
	global_wb scope:SCOPE_SE
	s_wait_dscnt 0x0
	s_barrier_signal -1
	s_barrier_wait -1
	global_inv scope:SCOPE_SE
	s_and_saveexec_b32 s0, vcc_lo
	s_cbranch_execz .LBB0_15
; %bb.14:
	v_lshlrev_b32_e32 v28, 1, v70
	v_add_nc_u32_e32 v120, 0x51, v64
	v_add_nc_u32_e32 v121, 0x6c, v64
	;; [unrolled: 1-line block ×4, first 2 shown]
	v_lshlrev_b64_e32 v[34:35], 4, v[28:29]
	v_lshlrev_b32_e32 v28, 1, v67
	v_mul_hi_u32 v112, 0xf2b9d649, v120
	v_mul_hi_u32 v114, 0xf2b9d649, v121
	;; [unrolled: 1-line block ×3, first 2 shown]
	s_delay_alu instid0(VALU_DEP_4) | instskip(SKIP_4) | instid1(VALU_DEP_3)
	v_lshlrev_b64_e32 v[42:43], 4, v[28:29]
	v_lshlrev_b32_e32 v28, 1, v66
	v_add_co_u32 v46, vcc_lo, s8, v34
	s_wait_alu 0xfffd
	v_add_co_ci_u32_e32 v47, vcc_lo, s9, v35, vcc_lo
	v_lshlrev_b64_e32 v[54:55], 4, v[28:29]
	v_lshlrev_b32_e32 v28, 1, v59
	v_add_co_u32 v66, vcc_lo, s8, v42
	s_clause 0x1
	global_load_b128 v[34:37], v[30:31], off offset:2096
	global_load_b128 v[38:41], v[46:47], off offset:2080
	s_wait_alu 0xfffd
	v_add_co_ci_u32_e32 v67, vcc_lo, s9, v43, vcc_lo
	s_clause 0x1
	global_load_b128 v[42:45], v[30:31], off offset:2080
	global_load_b128 v[46:49], v[46:47], off offset:2096
	v_lshlrev_b64_e32 v[30:31], 4, v[28:29]
	v_add_co_u32 v54, vcc_lo, s8, v54
	s_wait_alu 0xfffd
	v_add_co_ci_u32_e32 v55, vcc_lo, s9, v55, vcc_lo
	s_clause 0x1
	global_load_b128 v[50:53], v[66:67], off offset:2096
	global_load_b128 v[66:69], v[66:67], off offset:2080
	v_add_co_u32 v30, vcc_lo, s8, v30
	s_wait_alu 0xfffd
	v_add_co_ci_u32_e32 v31, vcc_lo, s9, v31, vcc_lo
	s_clause 0x3
	global_load_b128 v[70:73], v[54:55], off offset:2080
	global_load_b128 v[74:77], v[54:55], off offset:2096
	;; [unrolled: 1-line block ×4, first 2 shown]
	ds_load_2addr_b64 v[86:89], v65 offset0:115 offset1:142
	ds_load_2addr_b64 v[90:93], v57 offset0:135 offset1:162
	;; [unrolled: 1-line block ×3, first 2 shown]
	v_mul_lo_u32 v28, s3, v62
	v_mul_lo_u32 v65, s2, v63
	v_mad_co_u64_u32 v[30:31], null, s2, v62, 0
	v_mul_hi_u32 v59, 0xf2b9d649, v64
	ds_load_2addr_b64 v[98:101], v57 offset0:81 offset1:108
	ds_load_2addr_b64 v[102:105], v57 offset0:189 offset1:216
	;; [unrolled: 1-line block ×3, first 2 shown]
	v_lshrrev_b32_e32 v123, 7, v112
	v_lshrrev_b32_e32 v124, 7, v114
	v_add3_u32 v31, v31, v65, v28
	v_lshrrev_b32_e32 v65, 7, v110
	v_lshrrev_b32_e32 v113, 7, v59
	v_lshlrev_b64_e32 v[58:59], 4, v[60:61]
	v_mul_lo_u32 v130, 0x87, v124
	v_lshlrev_b64_e32 v[30:31], 4, v[30:31]
	v_mul_lo_u32 v125, 0x87, v65
	v_mul_lo_u32 v28, 0x87, v113
	;; [unrolled: 1-line block ×3, first 2 shown]
	s_delay_alu instid0(VALU_DEP_4) | instskip(SKIP_2) | instid1(VALU_DEP_2)
	v_add_co_u32 v128, vcc_lo, s6, v30
	s_wait_alu 0xfffd
	v_add_co_ci_u32_e32 v129, vcc_lo, s7, v31, vcc_lo
	v_add_co_u32 v134, vcc_lo, v128, v58
	s_wait_alu 0xfffd
	s_delay_alu instid0(VALU_DEP_2)
	v_add_co_ci_u32_e32 v135, vcc_lo, v129, v59, vcc_lo
	s_wait_loadcnt_dscnt 0x905
	v_mul_f64_e32 v[54:55], v[88:89], v[36:37]
	s_wait_loadcnt 0x8
	v_mul_f64_e32 v[62:63], v[86:87], v[40:41]
	v_mul_f64_e32 v[40:41], v[24:25], v[40:41]
	s_wait_loadcnt_dscnt 0x704
	v_mul_f64_e32 v[30:31], v[90:91], v[44:45]
	s_wait_loadcnt_dscnt 0x603
	v_mul_f64_e32 v[60:61], v[96:97], v[48:49]
	v_mul_f64_e32 v[44:45], v[16:17], v[44:45]
	;; [unrolled: 1-line block ×4, first 2 shown]
	s_wait_loadcnt 0x4
	v_mul_f64_e32 v[112:113], v[14:15], v[68:69]
	s_wait_loadcnt 0x3
	v_mul_f64_e32 v[114:115], v[12:13], v[72:73]
	;; [unrolled: 2-line block ×3, first 2 shown]
	v_fma_f64 v[54:55], v[26:27], v[34:35], -v[54:55]
	v_fma_f64 v[62:63], v[24:25], v[38:39], -v[62:63]
	v_fma_f64 v[38:39], v[38:39], v[86:87], v[40:41]
	s_wait_dscnt 0x1
	v_mul_f64_e32 v[40:41], v[104:105], v[68:69]
	v_mul_f64_e32 v[68:69], v[102:103], v[72:73]
	s_wait_dscnt 0x0
	v_mul_f64_e32 v[72:73], v[108:109], v[76:77]
	v_sub_nc_u32_e32 v76, v64, v28
	v_fma_f64 v[22:23], v[22:23], v[46:47], -v[60:61]
	v_sub_nc_u32_e32 v28, v118, v125
	ds_load_2addr_b64 v[24:27], v57 offset0:27 offset1:54
	v_fma_f64 v[16:17], v[16:17], v[42:43], -v[30:31]
	v_lshlrev_b32_e32 v59, 4, v76
	v_fma_f64 v[30:31], v[42:43], v[90:91], v[44:45]
	v_mad_co_u64_u32 v[57:58], null, 0x195, v65, v[28:29]
	v_sub_nc_u32_e32 v58, v121, v130
	s_delay_alu instid0(VALU_DEP_4)
	v_add_co_u32 v86, vcc_lo, v134, v59
	v_fma_f64 v[59:60], v[74:75], v[108:109], v[116:117]
	v_fma_f64 v[42:43], v[46:47], v[96:97], v[48:49]
	;; [unrolled: 1-line block ×4, first 2 shown]
	s_wait_loadcnt 0x1
	v_mul_f64_e32 v[36:37], v[92:93], v[80:81]
	v_mul_f64_e32 v[80:81], v[18:19], v[80:81]
	s_wait_loadcnt 0x0
	v_mul_f64_e32 v[88:89], v[106:107], v[84:85]
	v_mul_f64_e32 v[84:85], v[8:9], v[84:85]
	v_fma_f64 v[48:49], v[70:71], v[102:103], v[114:115]
	ds_load_b64 v[64:65], v56
	v_sub_nc_u32_e32 v56, v120, v127
	s_wait_alu 0xfffd
	v_add_co_ci_u32_e32 v87, vcc_lo, 0, v135, vcc_lo
	v_fma_f64 v[14:15], v[14:15], v[66:67], -v[40:41]
	v_fma_f64 v[12:13], v[12:13], v[70:71], -v[68:69]
	;; [unrolled: 1-line block ×3, first 2 shown]
	v_add_f64_e64 v[108:109], v[16:17], -v[54:55]
	v_mad_co_u64_u32 v[66:67], null, 0x195, v124, v[58:59]
	v_dual_mov_b32 v67, v29 :: v_dual_mov_b32 v58, v29
	v_mul_hi_u32 v111, 0xf2b9d649, v119
	v_fma_f64 v[18:19], v[18:19], v[78:79], -v[36:37]
	v_fma_f64 v[36:37], v[78:79], v[92:93], v[80:81]
	v_fma_f64 v[78:79], v[8:9], v[82:83], -v[88:89]
	v_fma_f64 v[80:81], v[82:83], v[106:107], v[84:85]
	v_mad_co_u64_u32 v[8:9], null, 0x195, v123, v[56:57]
	v_lshlrev_b64_e32 v[10:11], 4, v[57:58]
	v_lshrrev_b32_e32 v122, 7, v111
	v_mul_f64_e32 v[110:111], v[20:21], v[52:53]
	v_mul_f64_e32 v[52:53], v[94:95], v[52:53]
	v_mov_b32_e32 v9, v29
	v_add_f64_e32 v[88:89], v[48:49], v[59:60]
	v_mul_lo_u32 v126, 0x87, v122
	v_add_co_u32 v71, vcc_lo, v134, v10
	s_wait_alu 0xfffd
	v_add_co_ci_u32_e32 v72, vcc_lo, v135, v11, vcc_lo
	v_add_f64_e32 v[106:107], v[32:33], v[16:17]
	v_add_f64_e32 v[114:115], v[4:5], v[14:15]
	s_wait_dscnt 0x1
	v_add_f64_e32 v[116:117], v[48:49], v[26:27]
	v_sub_nc_u32_e32 v28, v119, v126
	v_add_f64_e32 v[118:119], v[2:3], v[12:13]
	v_add_f64_e64 v[112:113], v[38:39], -v[42:43]
	v_add_f64_e64 v[126:127], v[12:13], -v[40:41]
	;; [unrolled: 1-line block ×3, first 2 shown]
	v_mad_co_u64_u32 v[76:77], null, 0x195, v122, v[28:29]
	v_dual_mov_b32 v77, v29 :: v_dual_add_nc_u32 v28, 0x87, v57
	v_lshlrev_b64_e32 v[67:68], 4, v[66:67]
	s_delay_alu instid0(VALU_DEP_2) | instskip(SKIP_3) | instid1(VALU_DEP_3)
	v_lshlrev_b64_e32 v[69:70], 4, v[28:29]
	v_add_nc_u32_e32 v28, 0x10e, v57
	v_add_f64_e32 v[56:57], v[62:63], v[22:23]
	v_add_f64_e32 v[122:123], v[0:1], v[18:19]
	v_lshlrev_b64_e32 v[102:103], 4, v[28:29]
	v_add_f64_e32 v[92:93], v[18:19], v[78:79]
	v_add_f64_e32 v[90:91], v[36:37], v[80:81]
	v_add_nc_u32_e32 v28, 0x87, v76
	v_add_f64_e32 v[120:121], v[36:37], v[24:25]
	v_fma_f64 v[44:45], v[50:51], v[94:95], v[110:111]
	v_fma_f64 v[20:21], v[20:21], v[50:51], -v[52:53]
	v_lshlrev_b64_e32 v[50:51], 4, v[76:77]
	v_lshlrev_b64_e32 v[52:53], 4, v[8:9]
	v_add_f64_e32 v[9:10], v[30:31], v[34:35]
	v_add_f64_e32 v[94:95], v[12:13], v[40:41]
	v_lshlrev_b64_e32 v[104:105], 4, v[28:29]
	v_add_nc_u32_e32 v28, 0x10e, v76
	v_add_co_u32 v73, vcc_lo, v134, v50
	s_wait_alu 0xfffd
	v_add_co_ci_u32_e32 v74, vcc_lo, v135, v51, vcc_lo
	v_add_f64_e32 v[50:51], v[16:17], v[54:55]
	v_add_co_u32 v82, vcc_lo, v134, v52
	s_wait_alu 0xfffd
	v_add_co_ci_u32_e32 v83, vcc_lo, v135, v53, vcc_lo
	v_add_f64_e32 v[52:53], v[38:39], v[42:43]
	s_wait_dscnt 0x0
	v_add_f64_e32 v[75:76], v[30:31], v[64:65]
	v_add_f64_e64 v[30:31], v[30:31], -v[34:35]
	v_add_f64_e32 v[110:111], v[6:7], v[62:63]
	v_add_f64_e64 v[61:62], v[62:63], -v[22:23]
	v_add_f64_e32 v[16:17], v[38:39], v[100:101]
	v_add_f64_e32 v[38:39], v[46:47], v[98:99]
	v_lshlrev_b64_e32 v[130:131], 4, v[28:29]
	v_add_nc_u32_e32 v28, 0x87, v8
	v_add_f64_e32 v[12:13], v[118:119], v[40:41]
	v_add_co_u32 v67, vcc_lo, v134, v67
	s_wait_alu 0xfffd
	v_add_co_ci_u32_e32 v68, vcc_lo, v135, v68, vcc_lo
	v_lshlrev_b64_e32 v[132:133], 4, v[28:29]
	v_fma_f64 v[92:93], v[92:93], -0.5, v[0:1]
	v_add_f64_e32 v[0:1], v[106:107], v[54:55]
	v_add_nc_u32_e32 v28, 0x10e, v8
	v_add_co_u32 v69, vcc_lo, v134, v69
	s_wait_alu 0xfffd
	v_add_co_ci_u32_e32 v70, vcc_lo, v135, v70, vcc_lo
	v_add_f64_e32 v[84:85], v[46:47], v[44:45]
	v_add_f64_e32 v[96:97], v[14:15], v[20:21]
	v_add_f64_e64 v[124:125], v[14:15], -v[20:21]
	v_fma_f64 v[63:64], v[9:10], -0.5, v[64:65]
	v_fma_f64 v[94:95], v[94:95], -0.5, v[2:3]
	v_add_f64_e32 v[8:9], v[114:115], v[20:21]
	v_add_f64_e32 v[14:15], v[59:60], v[116:117]
	v_add_co_u32 v102, vcc_lo, v134, v102
	s_wait_alu 0xfffd
	v_add_co_ci_u32_e32 v103, vcc_lo, v135, v103, vcc_lo
	v_fma_f64 v[32:33], v[50:51], -0.5, v[32:33]
	v_add_co_u32 v104, vcc_lo, v134, v104
	s_wait_alu 0xfffd
	v_add_co_ci_u32_e32 v105, vcc_lo, v135, v105, vcc_lo
	v_fma_f64 v[50:51], v[52:53], -0.5, v[100:101]
	v_add_f64_e64 v[52:53], v[18:19], -v[78:79]
	v_fma_f64 v[100:101], v[56:57], -0.5, v[6:7]
	v_fma_f64 v[56:57], v[88:89], -0.5, v[26:27]
	;; [unrolled: 1-line block ×3, first 2 shown]
	v_add_f64_e64 v[90:91], v[36:37], -v[80:81]
	v_add_f64_e32 v[2:3], v[75:76], v[34:35]
	v_add_f64_e32 v[6:7], v[42:43], v[16:17]
	;; [unrolled: 1-line block ×5, first 2 shown]
	v_fma_f64 v[84:85], v[84:85], -0.5, v[98:99]
	v_add_f64_e64 v[98:99], v[46:47], -v[44:45]
	v_fma_f64 v[96:97], v[96:97], -0.5, v[4:5]
	v_fma_f64 v[26:27], v[108:109], s[10:11], v[63:64]
	v_add_f64_e32 v[4:5], v[110:111], v[22:23]
	v_fma_f64 v[22:23], v[108:109], s[4:5], v[63:64]
	v_fma_f64 v[54:55], v[128:129], s[4:5], v[94:95]
	;; [unrolled: 1-line block ×3, first 2 shown]
	v_lshlrev_b64_e32 v[64:65], 4, v[28:29]
	v_add_nc_u32_e32 v28, 0x87, v66
	v_fma_f64 v[24:25], v[30:31], s[4:5], v[32:33]
	v_fma_f64 v[20:21], v[30:31], s[10:11], v[32:33]
	s_delay_alu instid0(VALU_DEP_3)
	v_lshlrev_b64_e32 v[77:78], 4, v[28:29]
	v_add_nc_u32_e32 v28, 0x10e, v66
	v_fma_f64 v[32:33], v[61:62], s[4:5], v[50:51]
	v_fma_f64 v[36:37], v[61:62], s[10:11], v[50:51]
	;; [unrolled: 1-line block ×10, first 2 shown]
	v_add_co_u32 v62, vcc_lo, v134, v130
	s_wait_alu 0xfffd
	v_add_co_ci_u32_e32 v63, vcc_lo, v135, v131, vcc_lo
	v_add_co_u32 v75, vcc_lo, v134, v132
	s_wait_alu 0xfffd
	v_add_co_ci_u32_e32 v76, vcc_lo, v135, v133, vcc_lo
	v_add_co_u32 v64, vcc_lo, v134, v64
	v_lshlrev_b64_e32 v[28:29], 4, v[28:29]
	s_wait_alu 0xfffd
	v_add_co_ci_u32_e32 v65, vcc_lo, v135, v65, vcc_lo
	v_fma_f64 v[60:61], v[124:125], s[10:11], v[84:85]
	v_fma_f64 v[58:59], v[98:99], s[4:5], v[96:97]
	;; [unrolled: 1-line block ×4, first 2 shown]
	v_add_co_u32 v77, vcc_lo, v134, v77
	s_wait_alu 0xfffd
	v_add_co_ci_u32_e32 v78, vcc_lo, v135, v78, vcc_lo
	v_add_co_u32 v28, vcc_lo, v134, v28
	s_wait_alu 0xfffd
	v_add_co_ci_u32_e32 v29, vcc_lo, v135, v29, vcc_lo
	s_clause 0xe
	global_store_b128 v[86:87], v[0:3], off
	global_store_b128 v[86:87], v[24:27], off offset:2160
	global_store_b128 v[86:87], v[20:23], off offset:4320
	global_store_b128 v[71:72], v[16:19], off
	global_store_b128 v[69:70], v[50:53], off
	;; [unrolled: 1-line block ×12, first 2 shown]
.LBB0_15:
	s_nop 0
	s_sendmsg sendmsg(MSG_DEALLOC_VGPRS)
	s_endpgm
	.section	.rodata,"a",@progbits
	.p2align	6, 0x0
	.amdhsa_kernel fft_rtc_fwd_len405_factors_5_3_3_3_3_wgs_108_tpt_27_halfLds_dp_op_CI_CI_unitstride_sbrr_dirReg
		.amdhsa_group_segment_fixed_size 0
		.amdhsa_private_segment_fixed_size 0
		.amdhsa_kernarg_size 104
		.amdhsa_user_sgpr_count 2
		.amdhsa_user_sgpr_dispatch_ptr 0
		.amdhsa_user_sgpr_queue_ptr 0
		.amdhsa_user_sgpr_kernarg_segment_ptr 1
		.amdhsa_user_sgpr_dispatch_id 0
		.amdhsa_user_sgpr_private_segment_size 0
		.amdhsa_wavefront_size32 1
		.amdhsa_uses_dynamic_stack 0
		.amdhsa_enable_private_segment 0
		.amdhsa_system_sgpr_workgroup_id_x 1
		.amdhsa_system_sgpr_workgroup_id_y 0
		.amdhsa_system_sgpr_workgroup_id_z 0
		.amdhsa_system_sgpr_workgroup_info 0
		.amdhsa_system_vgpr_workitem_id 0
		.amdhsa_next_free_vgpr 136
		.amdhsa_next_free_sgpr 39
		.amdhsa_reserve_vcc 1
		.amdhsa_float_round_mode_32 0
		.amdhsa_float_round_mode_16_64 0
		.amdhsa_float_denorm_mode_32 3
		.amdhsa_float_denorm_mode_16_64 3
		.amdhsa_fp16_overflow 0
		.amdhsa_workgroup_processor_mode 1
		.amdhsa_memory_ordered 1
		.amdhsa_forward_progress 0
		.amdhsa_round_robin_scheduling 0
		.amdhsa_exception_fp_ieee_invalid_op 0
		.amdhsa_exception_fp_denorm_src 0
		.amdhsa_exception_fp_ieee_div_zero 0
		.amdhsa_exception_fp_ieee_overflow 0
		.amdhsa_exception_fp_ieee_underflow 0
		.amdhsa_exception_fp_ieee_inexact 0
		.amdhsa_exception_int_div_zero 0
	.end_amdhsa_kernel
	.text
.Lfunc_end0:
	.size	fft_rtc_fwd_len405_factors_5_3_3_3_3_wgs_108_tpt_27_halfLds_dp_op_CI_CI_unitstride_sbrr_dirReg, .Lfunc_end0-fft_rtc_fwd_len405_factors_5_3_3_3_3_wgs_108_tpt_27_halfLds_dp_op_CI_CI_unitstride_sbrr_dirReg
                                        ; -- End function
	.section	.AMDGPU.csdata,"",@progbits
; Kernel info:
; codeLenInByte = 10424
; NumSgprs: 41
; NumVgprs: 136
; ScratchSize: 0
; MemoryBound: 1
; FloatMode: 240
; IeeeMode: 1
; LDSByteSize: 0 bytes/workgroup (compile time only)
; SGPRBlocks: 5
; VGPRBlocks: 16
; NumSGPRsForWavesPerEU: 41
; NumVGPRsForWavesPerEU: 136
; Occupancy: 10
; WaveLimiterHint : 1
; COMPUTE_PGM_RSRC2:SCRATCH_EN: 0
; COMPUTE_PGM_RSRC2:USER_SGPR: 2
; COMPUTE_PGM_RSRC2:TRAP_HANDLER: 0
; COMPUTE_PGM_RSRC2:TGID_X_EN: 1
; COMPUTE_PGM_RSRC2:TGID_Y_EN: 0
; COMPUTE_PGM_RSRC2:TGID_Z_EN: 0
; COMPUTE_PGM_RSRC2:TIDIG_COMP_CNT: 0
	.text
	.p2alignl 7, 3214868480
	.fill 96, 4, 3214868480
	.type	__hip_cuid_349689eac90c7bfb,@object ; @__hip_cuid_349689eac90c7bfb
	.section	.bss,"aw",@nobits
	.globl	__hip_cuid_349689eac90c7bfb
__hip_cuid_349689eac90c7bfb:
	.byte	0                               ; 0x0
	.size	__hip_cuid_349689eac90c7bfb, 1

	.ident	"AMD clang version 19.0.0git (https://github.com/RadeonOpenCompute/llvm-project roc-6.4.0 25133 c7fe45cf4b819c5991fe208aaa96edf142730f1d)"
	.section	".note.GNU-stack","",@progbits
	.addrsig
	.addrsig_sym __hip_cuid_349689eac90c7bfb
	.amdgpu_metadata
---
amdhsa.kernels:
  - .args:
      - .actual_access:  read_only
        .address_space:  global
        .offset:         0
        .size:           8
        .value_kind:     global_buffer
      - .offset:         8
        .size:           8
        .value_kind:     by_value
      - .actual_access:  read_only
        .address_space:  global
        .offset:         16
        .size:           8
        .value_kind:     global_buffer
      - .actual_access:  read_only
        .address_space:  global
        .offset:         24
        .size:           8
        .value_kind:     global_buffer
      - .actual_access:  read_only
        .address_space:  global
        .offset:         32
        .size:           8
        .value_kind:     global_buffer
      - .offset:         40
        .size:           8
        .value_kind:     by_value
      - .actual_access:  read_only
        .address_space:  global
        .offset:         48
        .size:           8
        .value_kind:     global_buffer
      - .actual_access:  read_only
        .address_space:  global
        .offset:         56
        .size:           8
        .value_kind:     global_buffer
      - .offset:         64
        .size:           4
        .value_kind:     by_value
      - .actual_access:  read_only
        .address_space:  global
        .offset:         72
        .size:           8
        .value_kind:     global_buffer
      - .actual_access:  read_only
        .address_space:  global
        .offset:         80
        .size:           8
        .value_kind:     global_buffer
      - .actual_access:  read_only
        .address_space:  global
        .offset:         88
        .size:           8
        .value_kind:     global_buffer
      - .actual_access:  write_only
        .address_space:  global
        .offset:         96
        .size:           8
        .value_kind:     global_buffer
    .group_segment_fixed_size: 0
    .kernarg_segment_align: 8
    .kernarg_segment_size: 104
    .language:       OpenCL C
    .language_version:
      - 2
      - 0
    .max_flat_workgroup_size: 108
    .name:           fft_rtc_fwd_len405_factors_5_3_3_3_3_wgs_108_tpt_27_halfLds_dp_op_CI_CI_unitstride_sbrr_dirReg
    .private_segment_fixed_size: 0
    .sgpr_count:     41
    .sgpr_spill_count: 0
    .symbol:         fft_rtc_fwd_len405_factors_5_3_3_3_3_wgs_108_tpt_27_halfLds_dp_op_CI_CI_unitstride_sbrr_dirReg.kd
    .uniform_work_group_size: 1
    .uses_dynamic_stack: false
    .vgpr_count:     136
    .vgpr_spill_count: 0
    .wavefront_size: 32
    .workgroup_processor_mode: 1
amdhsa.target:   amdgcn-amd-amdhsa--gfx1201
amdhsa.version:
  - 1
  - 2
...

	.end_amdgpu_metadata
